;; amdgpu-corpus repo=ROCm/rocFFT kind=compiled arch=gfx906 opt=O3
	.text
	.amdgcn_target "amdgcn-amd-amdhsa--gfx906"
	.amdhsa_code_object_version 6
	.protected	bluestein_single_back_len816_dim1_half_op_CI_CI ; -- Begin function bluestein_single_back_len816_dim1_half_op_CI_CI
	.globl	bluestein_single_back_len816_dim1_half_op_CI_CI
	.p2align	8
	.type	bluestein_single_back_len816_dim1_half_op_CI_CI,@function
bluestein_single_back_len816_dim1_half_op_CI_CI: ; @bluestein_single_back_len816_dim1_half_op_CI_CI
; %bb.0:
	s_mov_b64 s[38:39], s[2:3]
	s_mov_b64 s[36:37], s[0:1]
	s_load_dwordx4 s[0:3], s[4:5], 0x28
	v_mul_u32_u24_e32 v3, 0x506, v0
	v_add_u32_sdwa v146, s6, v3 dst_sel:DWORD dst_unused:UNUSED_PAD src0_sel:DWORD src1_sel:WORD_1
	v_mov_b32_e32 v147, 0
	s_add_u32 s36, s36, s7
	s_waitcnt lgkmcnt(0)
	v_cmp_gt_u64_e32 vcc, s[0:1], v[146:147]
	s_addc_u32 s37, s37, 0
	s_and_saveexec_b64 s[0:1], vcc
	s_cbranch_execz .LBB0_23
; %bb.1:
	s_load_dwordx2 s[6:7], s[4:5], 0x0
	s_load_dwordx2 s[12:13], s[4:5], 0x38
	v_mov_b32_e32 v2, 51
	v_mul_lo_u16_sdwa v2, v3, v2 dst_sel:DWORD dst_unused:UNUSED_PAD src0_sel:WORD_1 src1_sel:DWORD
	v_sub_u16_e32 v0, v0, v2
	v_cmp_gt_u16_e32 vcc, 48, v0
	v_lshlrev_b32_e32 v30, 2, v0
	s_and_saveexec_b64 s[14:15], vcc
	s_cbranch_execz .LBB0_3
; %bb.2:
	s_load_dwordx2 s[0:1], s[4:5], 0x18
	v_or_b32_e32 v15, 0xc0, v0
	s_waitcnt lgkmcnt(0)
	s_load_dwordx4 s[8:11], s[0:1], 0x0
	s_waitcnt lgkmcnt(0)
	v_mad_u64_u32 v[2:3], s[0:1], s10, v146, 0
	v_mad_u64_u32 v[4:5], s[0:1], s8, v0, 0
	s_mul_i32 s10, s9, 0x180
	s_mul_i32 s16, s8, 0x180
	v_mad_u64_u32 v[6:7], s[0:1], s11, v146, v[3:4]
	s_mul_hi_u32 s11, s8, 0x180
	s_add_i32 s10, s11, s10
	v_mad_u64_u32 v[7:8], s[0:1], s9, v0, v[5:6]
	v_mov_b32_e32 v3, v6
	v_lshlrev_b64 v[2:3], 2, v[2:3]
	v_mov_b32_e32 v5, v7
	v_mov_b32_e32 v8, s3
	v_lshlrev_b64 v[4:5], 2, v[4:5]
	v_add_co_u32_e64 v10, s[0:1], s2, v2
	v_addc_co_u32_e64 v11, s[0:1], v8, v3, s[0:1]
	v_add_co_u32_e64 v2, s[0:1], v10, v4
	v_addc_co_u32_e64 v3, s[0:1], v11, v5, s[0:1]
	s_mul_i32 s0, s9, 0xc0
	s_mul_hi_u32 s3, s8, 0xc0
	s_add_i32 s3, s3, s0
	s_mul_i32 s2, s8, 0xc0
	global_load_dword v12, v[2:3], off
	v_mov_b32_e32 v4, s3
	v_add_co_u32_e64 v2, s[0:1], s2, v2
	v_addc_co_u32_e64 v3, s[0:1], v3, v4, s[0:1]
	v_mov_b32_e32 v5, s3
	v_add_co_u32_e64 v4, s[0:1], s2, v2
	v_addc_co_u32_e64 v5, s[0:1], v3, v5, s[0:1]
	v_mad_u64_u32 v[6:7], s[0:1], s8, v15, 0
	global_load_dword v13, v30, s[6:7]
	global_load_dword v14, v30, s[6:7] offset:192
	global_load_dword v16, v[2:3], off
	v_mov_b32_e32 v9, s3
	v_add_co_u32_e64 v8, s[0:1], s2, v4
	v_addc_co_u32_e64 v9, s[0:1], v5, v9, s[0:1]
	v_mad_u64_u32 v[2:3], s[0:1], s9, v15, v[7:8]
	global_load_dword v15, v[4:5], off
	global_load_dword v17, v[8:9], off
	global_load_dword v18, v30, s[6:7] offset:384
	global_load_dword v19, v30, s[6:7] offset:576
	v_mov_b32_e32 v5, s10
	v_mov_b32_e32 v7, v2
	v_lshlrev_b64 v[2:3], 2, v[6:7]
	v_or_b32_e32 v6, 0x180, v0
	v_add_co_u32_e64 v2, s[0:1], v10, v2
	v_addc_co_u32_e64 v3, s[0:1], v11, v3, s[0:1]
	global_load_dword v20, v[2:3], off
	global_load_dword v21, v30, s[6:7] offset:768
	global_load_dword v22, v30, s[6:7] offset:960
	;; [unrolled: 1-line block ×4, first 2 shown]
	v_mad_u64_u32 v[2:3], s[0:1], s8, v6, 0
	v_add_co_u32_e64 v4, s[0:1], s16, v8
	v_addc_co_u32_e64 v5, s[0:1], v9, v5, s[0:1]
	v_mov_b32_e32 v7, s3
	global_load_dword v8, v[4:5], off
	v_add_co_u32_e64 v4, s[0:1], s2, v4
	v_addc_co_u32_e64 v5, s[0:1], v5, v7, s[0:1]
	v_mad_u64_u32 v[6:7], s[0:1], s9, v6, v[3:4]
	v_mov_b32_e32 v34, s3
	v_mov_b32_e32 v3, v6
	v_lshlrev_b64 v[2:3], 2, v[2:3]
	v_or_b32_e32 v6, 0x240, v0
	s_waitcnt vmcnt(13)
	v_lshrrev_b32_e32 v9, 16, v12
	s_waitcnt vmcnt(12)
	v_mul_f16_sdwa v25, v13, v12 dst_sel:DWORD dst_unused:UNUSED_PAD src0_sel:WORD_1 src1_sel:DWORD
	v_mul_f16_sdwa v26, v13, v9 dst_sel:DWORD dst_unused:UNUSED_PAD src0_sel:WORD_1 src1_sel:DWORD
	v_fma_f16 v9, v13, v9, -v25
	s_waitcnt vmcnt(10)
	v_lshrrev_b32_e32 v25, 16, v16
	v_mul_f16_sdwa v27, v14, v16 dst_sel:DWORD dst_unused:UNUSED_PAD src0_sel:WORD_1 src1_sel:DWORD
	v_fma_f16 v12, v13, v12, v26
	v_mul_f16_sdwa v13, v14, v25 dst_sel:DWORD dst_unused:UNUSED_PAD src0_sel:WORD_1 src1_sel:DWORD
	s_waitcnt vmcnt(9)
	v_lshrrev_b32_e32 v26, 16, v15
	v_fma_f16 v25, v14, v25, -v27
	s_waitcnt vmcnt(7)
	v_mul_f16_sdwa v27, v18, v15 dst_sel:DWORD dst_unused:UNUSED_PAD src0_sel:WORD_1 src1_sel:DWORD
	v_pack_b32_f16 v9, v12, v9
	v_fma_f16 v12, v14, v16, v13
	v_mul_f16_sdwa v13, v18, v26 dst_sel:DWORD dst_unused:UNUSED_PAD src0_sel:WORD_1 src1_sel:DWORD
	v_lshrrev_b32_e32 v16, 16, v17
	v_fma_f16 v14, v18, v26, -v27
	s_waitcnt vmcnt(6)
	v_mul_f16_sdwa v26, v19, v17 dst_sel:DWORD dst_unused:UNUSED_PAD src0_sel:WORD_1 src1_sel:DWORD
	v_pack_b32_f16 v12, v12, v25
	v_fma_f16 v13, v18, v15, v13
	v_mul_f16_sdwa v15, v19, v16 dst_sel:DWORD dst_unused:UNUSED_PAD src0_sel:WORD_1 src1_sel:DWORD
	v_fma_f16 v16, v19, v16, -v26
	ds_write2_b32 v30, v9, v12 offset1:48
	v_fma_f16 v12, v19, v17, v15
	v_pack_b32_f16 v9, v13, v14
	v_pack_b32_f16 v12, v12, v16
	ds_write2_b32 v30, v9, v12 offset0:96 offset1:144
	global_load_dword v9, v[4:5], off
	v_mov_b32_e32 v12, s3
	v_add_co_u32_e64 v4, s[0:1], s2, v4
	v_addc_co_u32_e64 v5, s[0:1], v5, v12, s[0:1]
	global_load_dword v7, v[4:5], off
	v_add_co_u32_e64 v2, s[0:1], v10, v2
	v_addc_co_u32_e64 v3, s[0:1], v11, v3, s[0:1]
	global_load_dword v12, v[2:3], off
	v_mov_b32_e32 v3, s10
	v_add_co_u32_e64 v2, s[0:1], s16, v4
	v_addc_co_u32_e64 v3, s[0:1], v5, v3, s[0:1]
	global_load_dword v14, v[2:3], off
	v_mov_b32_e32 v4, s3
	v_add_co_u32_e64 v2, s[0:1], s2, v2
	v_addc_co_u32_e64 v3, s[0:1], v3, v4, s[0:1]
	v_mad_u64_u32 v[4:5], s[0:1], s8, v6, 0
	s_waitcnt vmcnt(9)
	v_lshrrev_b32_e32 v27, 16, v20
	s_waitcnt vmcnt(8)
	v_mul_f16_sdwa v18, v21, v27 dst_sel:DWORD dst_unused:UNUSED_PAD src0_sel:WORD_1 src1_sel:DWORD
	v_fma_f16 v13, v21, v20, v18
	global_load_dword v15, v[2:3], off
	global_load_dword v16, v30, s[6:7] offset:1536
	global_load_dword v17, v30, s[6:7] offset:1728
	;; [unrolled: 1-line block ×3, first 2 shown]
	v_mad_u64_u32 v[5:6], s[0:1], s9, v6, v[5:6]
	v_mov_b32_e32 v19, s3
	v_add_co_u32_e64 v2, s[0:1], s2, v2
	v_lshlrev_b64 v[4:5], 2, v[4:5]
	v_addc_co_u32_e64 v3, s[0:1], v3, v19, s[0:1]
	global_load_dword v19, v[2:3], off
	v_add_co_u32_e64 v4, s[0:1], v10, v4
	v_addc_co_u32_e64 v5, s[0:1], v11, v5, s[0:1]
	global_load_dword v25, v[4:5], off
	global_load_dword v26, v30, s[6:7] offset:2112
	global_load_dword v28, v30, s[6:7] offset:2304
	v_mov_b32_e32 v4, s10
	v_add_co_u32_e64 v2, s[0:1], s16, v2
	v_addc_co_u32_e64 v3, s[0:1], v3, v4, s[0:1]
	global_load_dword v29, v[2:3], off
	v_mov_b32_e32 v4, s3
	v_add_co_u32_e64 v2, s[0:1], s2, v2
	v_or_b32_e32 v6, 0x300, v0
	v_addc_co_u32_e64 v3, s[0:1], v3, v4, s[0:1]
	global_load_dword v31, v30, s[6:7] offset:2496
	v_mad_u64_u32 v[4:5], s[0:1], s8, v6, 0
	global_load_dword v32, v[2:3], off
	global_load_dword v33, v30, s[6:7] offset:2688
	v_mad_u64_u32 v[5:6], s[0:1], s9, v6, v[5:6]
	v_add_co_u32_e64 v2, s[0:1], s2, v2
	v_addc_co_u32_e64 v3, s[0:1], v3, v34, s[0:1]
	global_load_dword v6, v[2:3], off
	global_load_dword v34, v30, s[6:7] offset:2880
	v_lshlrev_b64 v[2:3], 2, v[4:5]
	v_add_co_u32_e64 v2, s[0:1], v10, v2
	v_addc_co_u32_e64 v3, s[0:1], v11, v3, s[0:1]
	global_load_dword v4, v[2:3], off
	global_load_dword v5, v30, s[6:7] offset:3072
	s_waitcnt vmcnt(20)
	v_lshrrev_b32_e32 v3, 16, v8
	v_mul_f16_sdwa v10, v22, v3 dst_sel:DWORD dst_unused:UNUSED_PAD src0_sel:WORD_1 src1_sel:DWORD
	v_mul_f16_sdwa v2, v21, v20 dst_sel:DWORD dst_unused:UNUSED_PAD src0_sel:WORD_1 src1_sel:DWORD
	v_fma_f16 v10, v22, v8, v10
	v_mul_f16_sdwa v8, v22, v8 dst_sel:DWORD dst_unused:UNUSED_PAD src0_sel:WORD_1 src1_sel:DWORD
	v_fma_f16 v2, v21, v27, -v2
	v_fma_f16 v3, v22, v3, -v8
	v_pack_b32_f16 v2, v13, v2
	v_pack_b32_f16 v3, v10, v3
	ds_write2_b32 v30, v2, v3 offset0:192 offset1:240
	s_waitcnt vmcnt(19)
	v_lshrrev_b32_e32 v2, 16, v9
	v_mul_f16_sdwa v3, v23, v2 dst_sel:DWORD dst_unused:UNUSED_PAD src0_sel:WORD_1 src1_sel:DWORD
	v_mul_f16_sdwa v8, v23, v9 dst_sel:DWORD dst_unused:UNUSED_PAD src0_sel:WORD_1 src1_sel:DWORD
	v_fma_f16 v3, v23, v9, v3
	v_fma_f16 v2, v23, v2, -v8
	v_pack_b32_f16 v2, v3, v2
	s_waitcnt vmcnt(18)
	v_lshrrev_b32_e32 v3, 16, v7
	v_mul_f16_sdwa v8, v24, v3 dst_sel:DWORD dst_unused:UNUSED_PAD src0_sel:WORD_1 src1_sel:DWORD
	v_fma_f16 v8, v24, v7, v8
	v_mul_f16_sdwa v7, v24, v7 dst_sel:DWORD dst_unused:UNUSED_PAD src0_sel:WORD_1 src1_sel:DWORD
	v_fma_f16 v3, v24, v3, -v7
	v_pack_b32_f16 v3, v8, v3
	v_add_u32_e32 v7, 0x400, v30
	ds_write2_b32 v7, v2, v3 offset0:32 offset1:80
	s_waitcnt vmcnt(17)
	v_lshrrev_b32_e32 v2, 16, v12
	s_waitcnt vmcnt(14)
	v_mul_f16_sdwa v3, v16, v2 dst_sel:DWORD dst_unused:UNUSED_PAD src0_sel:WORD_1 src1_sel:DWORD
	v_mul_f16_sdwa v8, v16, v12 dst_sel:DWORD dst_unused:UNUSED_PAD src0_sel:WORD_1 src1_sel:DWORD
	v_fma_f16 v3, v16, v12, v3
	v_fma_f16 v2, v16, v2, -v8
	v_pack_b32_f16 v2, v3, v2
	v_lshrrev_b32_e32 v3, 16, v14
	s_waitcnt vmcnt(13)
	v_mul_f16_sdwa v8, v17, v3 dst_sel:DWORD dst_unused:UNUSED_PAD src0_sel:WORD_1 src1_sel:DWORD
	v_mul_f16_sdwa v9, v17, v14 dst_sel:DWORD dst_unused:UNUSED_PAD src0_sel:WORD_1 src1_sel:DWORD
	v_fma_f16 v8, v17, v14, v8
	v_fma_f16 v3, v17, v3, -v9
	v_pack_b32_f16 v3, v8, v3
	ds_write2_b32 v7, v2, v3 offset0:128 offset1:176
	v_lshrrev_b32_e32 v2, 16, v15
	s_waitcnt vmcnt(12)
	v_mul_f16_sdwa v3, v18, v2 dst_sel:DWORD dst_unused:UNUSED_PAD src0_sel:WORD_1 src1_sel:DWORD
	v_mul_f16_sdwa v7, v18, v15 dst_sel:DWORD dst_unused:UNUSED_PAD src0_sel:WORD_1 src1_sel:DWORD
	v_fma_f16 v3, v18, v15, v3
	v_fma_f16 v2, v18, v2, -v7
	v_pack_b32_f16 v2, v3, v2
	s_waitcnt vmcnt(11)
	v_lshrrev_b32_e32 v3, 16, v19
	s_waitcnt vmcnt(9)
	v_mul_f16_sdwa v7, v26, v3 dst_sel:DWORD dst_unused:UNUSED_PAD src0_sel:WORD_1 src1_sel:DWORD
	v_mul_f16_sdwa v8, v26, v19 dst_sel:DWORD dst_unused:UNUSED_PAD src0_sel:WORD_1 src1_sel:DWORD
	v_fma_f16 v7, v26, v19, v7
	v_fma_f16 v3, v26, v3, -v8
	v_pack_b32_f16 v3, v7, v3
	v_add_u32_e32 v7, 0x600, v30
	ds_write2_b32 v7, v2, v3 offset0:96 offset1:144
	v_lshrrev_b32_e32 v2, 16, v25
	s_waitcnt vmcnt(8)
	v_mul_f16_sdwa v3, v28, v2 dst_sel:DWORD dst_unused:UNUSED_PAD src0_sel:WORD_1 src1_sel:DWORD
	v_mul_f16_sdwa v7, v28, v25 dst_sel:DWORD dst_unused:UNUSED_PAD src0_sel:WORD_1 src1_sel:DWORD
	v_fma_f16 v3, v28, v25, v3
	v_fma_f16 v2, v28, v2, -v7
	v_pack_b32_f16 v2, v3, v2
	s_waitcnt vmcnt(7)
	v_lshrrev_b32_e32 v3, 16, v29
	s_waitcnt vmcnt(6)
	v_mul_f16_sdwa v7, v31, v3 dst_sel:DWORD dst_unused:UNUSED_PAD src0_sel:WORD_1 src1_sel:DWORD
	v_mul_f16_sdwa v8, v31, v29 dst_sel:DWORD dst_unused:UNUSED_PAD src0_sel:WORD_1 src1_sel:DWORD
	v_fma_f16 v7, v31, v29, v7
	v_fma_f16 v3, v31, v3, -v8
	v_pack_b32_f16 v3, v7, v3
	v_add_u32_e32 v7, 0x800, v30
	ds_write2_b32 v7, v2, v3 offset0:64 offset1:112
	s_waitcnt vmcnt(5)
	v_lshrrev_b32_e32 v2, 16, v32
	s_waitcnt vmcnt(4)
	v_mul_f16_sdwa v3, v33, v2 dst_sel:DWORD dst_unused:UNUSED_PAD src0_sel:WORD_1 src1_sel:DWORD
	v_mul_f16_sdwa v8, v33, v32 dst_sel:DWORD dst_unused:UNUSED_PAD src0_sel:WORD_1 src1_sel:DWORD
	v_fma_f16 v3, v33, v32, v3
	v_fma_f16 v2, v33, v2, -v8
	v_pack_b32_f16 v2, v3, v2
	s_waitcnt vmcnt(3)
	v_lshrrev_b32_e32 v3, 16, v6
	s_waitcnt vmcnt(2)
	v_mul_f16_sdwa v8, v34, v3 dst_sel:DWORD dst_unused:UNUSED_PAD src0_sel:WORD_1 src1_sel:DWORD
	v_fma_f16 v8, v34, v6, v8
	v_mul_f16_sdwa v6, v34, v6 dst_sel:DWORD dst_unused:UNUSED_PAD src0_sel:WORD_1 src1_sel:DWORD
	v_fma_f16 v3, v34, v3, -v6
	v_pack_b32_f16 v3, v8, v3
	ds_write2_b32 v7, v2, v3 offset0:160 offset1:208
	s_waitcnt vmcnt(1)
	v_lshrrev_b32_e32 v2, 16, v4
	s_waitcnt vmcnt(0)
	v_mul_f16_sdwa v3, v5, v2 dst_sel:DWORD dst_unused:UNUSED_PAD src0_sel:WORD_1 src1_sel:DWORD
	v_fma_f16 v3, v5, v4, v3
	v_mul_f16_sdwa v4, v5, v4 dst_sel:DWORD dst_unused:UNUSED_PAD src0_sel:WORD_1 src1_sel:DWORD
	v_fma_f16 v2, v5, v2, -v4
	v_pack_b32_f16 v2, v3, v2
	ds_write_b32 v30, v2 offset:3072
.LBB0_3:
	s_or_b64 exec, exec, s[14:15]
	s_load_dwordx2 s[0:1], s[4:5], 0x20
	s_load_dwordx2 s[14:15], s[4:5], 0x8
	v_mov_b32_e32 v2, 0
	s_waitcnt lgkmcnt(0)
	; wave barrier
	s_waitcnt lgkmcnt(0)
                                        ; implicit-def: $vgpr43
                                        ; implicit-def: $vgpr5
                                        ; implicit-def: $vgpr11
                                        ; implicit-def: $vgpr9
                                        ; implicit-def: $vgpr7
                                        ; implicit-def: $vgpr13
                                        ; implicit-def: $vgpr15
                                        ; implicit-def: $vgpr17
                                        ; implicit-def: $vgpr46
	s_and_saveexec_b64 s[2:3], vcc
	s_cbranch_execz .LBB0_5
; %bb.4:
	v_add_u32_e32 v4, 0x400, v30
	ds_read2_b32 v[2:3], v30 offset1:48
	ds_read2_b32 v[16:17], v30 offset0:96 offset1:144
	ds_read2_b32 v[14:15], v30 offset0:192 offset1:240
	;; [unrolled: 1-line block ×4, first 2 shown]
	v_add_u32_e32 v4, 0x600, v30
	ds_read2_b32 v[8:9], v4 offset0:96 offset1:144
	v_add_u32_e32 v4, 0x800, v30
	ds_read2_b32 v[10:11], v4 offset0:64 offset1:112
	ds_read2_b32 v[4:5], v4 offset0:160 offset1:208
	ds_read_b32 v43, v30 offset:3072
	s_waitcnt lgkmcnt(0)
	v_alignbit_b32 v46, v16, v16, 16
.LBB0_5:
	s_or_b64 exec, exec, s[2:3]
	v_pk_add_f16 v16, v3, v43 neg_lo:[0,1] neg_hi:[0,1]
	s_mov_b32 s22, 0xb5c8
	v_pk_add_f16 v20, v43, v3
	s_movk_i32 s4, 0x3b76
	v_mul_f16_sdwa v60, v16, s22 dst_sel:DWORD dst_unused:UNUSED_PAD src0_sel:WORD_1 src1_sel:DWORD
	v_lshrrev_b32_e32 v59, 16, v20
	v_mul_f16_e32 v61, 0xb5c8, v16
	v_fma_f16 v18, v20, s4, v60
	v_add_f16_e32 v19, v18, v2
	v_fma_f16 v18, v59, s4, -v61
	v_add_f16_sdwa v21, v18, v2 dst_sel:DWORD dst_unused:UNUSED_PAD src0_sel:DWORD src1_sel:WORD_1
	v_pk_add_f16 v18, v5, v46 op_sel:[1,0] op_sel_hi:[0,1]
	v_pk_add_f16 v22, v46, v5 op_sel:[1,0] op_sel_hi:[0,1] neg_lo:[0,1] neg_hi:[0,1]
	s_mov_b32 s25, 0xb964
	v_lshrrev_b32_e32 v36, 16, v18
	s_movk_i32 s5, 0x39e9
	v_mul_f16_sdwa v44, v22, s25 dst_sel:DWORD dst_unused:UNUSED_PAD src0_sel:WORD_1 src1_sel:DWORD
	v_mul_f16_e32 v48, 0xb964, v22
	v_fma_f16 v23, v36, s5, v44
	v_add_f16_e32 v23, v23, v19
	v_fma_f16 v19, v18, s5, -v48
	v_add_f16_e32 v21, v19, v21
	v_pk_add_f16 v19, v17, v4 neg_lo:[0,1] neg_hi:[0,1]
	s_mov_b32 s24, 0xbb29
	v_pk_add_f16 v24, v4, v17
	s_movk_i32 s8, 0x3722
	v_mul_f16_sdwa v45, v19, s24 dst_sel:DWORD dst_unused:UNUSED_PAD src0_sel:WORD_1 src1_sel:DWORD
	v_lshrrev_b32_e32 v39, 16, v24
	v_mul_f16_e32 v50, 0xbb29, v19
	v_fma_f16 v25, v24, s8, v45
	v_add_f16_e32 v23, v25, v23
	v_fma_f16 v25, v39, s8, -v50
	v_add_f16_e32 v26, v25, v21
	v_pk_add_f16 v21, v14, v11 neg_lo:[0,1] neg_hi:[0,1]
	s_mov_b32 s23, 0xbbf7
	v_pk_add_f16 v25, v11, v14
	s_movk_i32 s10, 0x2de8
	v_mul_f16_sdwa v47, v21, s23 dst_sel:DWORD dst_unused:UNUSED_PAD src0_sel:WORD_1 src1_sel:DWORD
	v_lshrrev_b32_e32 v40, 16, v25
	v_mul_f16_e32 v52, 0xbbf7, v21
	v_fma_f16 v27, v25, s10, v47
	v_add_f16_e32 v28, v27, v23
	v_fma_f16 v23, v40, s10, -v52
	v_add_f16_e32 v26, v23, v26
	v_pk_add_f16 v23, v15, v10 neg_lo:[0,1] neg_hi:[0,1]
	s_mov_b32 s9, 0xbbb2
	v_pk_add_f16 v27, v10, v15
	s_mov_b32 s11, 0xb461
	v_mul_f16_sdwa v49, v23, s9 dst_sel:DWORD dst_unused:UNUSED_PAD src0_sel:WORD_1 src1_sel:DWORD
	v_fma_f16 v29, v27, s11, v49
	v_lshrrev_b32_e32 v41, 16, v27
	v_mul_f16_e32 v54, 0xbbb2, v23
	v_add_f16_e32 v28, v29, v28
	v_fma_f16 v29, v41, s11, -v54
	v_add_f16_e32 v29, v29, v26
	s_mov_b32 s16, 0xba62
	v_pk_add_f16 v26, v12, v9 neg_lo:[0,1] neg_hi:[0,1]
	s_mov_b32 s17, 0xb8d2
	v_pk_add_f16 v32, v9, v12
	v_mul_f16_sdwa v51, v26, s16 dst_sel:DWORD dst_unused:UNUSED_PAD src0_sel:WORD_1 src1_sel:DWORD
	v_fma_f16 v31, v32, s17, v51
	v_lshrrev_b32_e32 v42, 16, v32
	v_mul_f16_e32 v56, 0xba62, v26
	v_add_f16_e32 v28, v31, v28
	v_fma_f16 v31, v42, s17, -v56
	v_add_f16_e32 v29, v31, v29
	s_mov_b32 s18, 0xb836
	v_pk_add_f16 v31, v13, v8 neg_lo:[0,1] neg_hi:[0,1]
	s_mov_b32 s20, 0xbacd
	v_pk_add_f16 v34, v8, v13
	v_mul_f16_sdwa v53, v31, s18 dst_sel:DWORD dst_unused:UNUSED_PAD src0_sel:WORD_1 src1_sel:DWORD
	v_fma_f16 v33, v34, s20, v53
	v_lshrrev_b32_e32 v37, 16, v34
	v_mul_f16_e32 v57, 0xb836, v31
	v_add_f16_e32 v28, v33, v28
	v_fma_f16 v33, v37, s20, -v57
	v_add_f16_e32 v29, v33, v29
	s_mov_b32 s19, 0xb1e1
	v_pk_add_f16 v33, v6, v7 neg_lo:[0,1] neg_hi:[0,1]
	s_mov_b32 s21, 0xbbdd
	v_pk_add_f16 v35, v7, v6
	v_mul_f16_sdwa v55, v33, s19 dst_sel:DWORD dst_unused:UNUSED_PAD src0_sel:WORD_1 src1_sel:DWORD
	v_fma_f16 v38, v35, s21, v55
	v_add_f16_e32 v28, v38, v28
	v_lshrrev_b32_e32 v38, 16, v35
	v_mul_f16_e32 v58, 0xb1e1, v33
	v_fma_f16 v62, v38, s21, -v58
	v_add_f16_e32 v29, v62, v29
	s_waitcnt lgkmcnt(0)
	; wave barrier
	s_waitcnt lgkmcnt(0)
	s_and_saveexec_b64 s[2:3], vcc
	s_cbranch_execz .LBB0_7
; %bb.6:
	v_mul_f16_e32 v62, 0x3b76, v59
	v_add_f16_e32 v61, v61, v62
	v_mul_f16_e32 v62, 0x3b76, v20
	v_sub_f16_e32 v60, v62, v60
	v_mul_f16_sdwa v62, v16, s25 dst_sel:DWORD dst_unused:UNUSED_PAD src0_sel:WORD_1 src1_sel:DWORD
	s_movk_i32 s31, 0x3836
	s_movk_i32 s28, 0x3bb2
	;; [unrolled: 1-line block ×3, first 2 shown]
	v_mul_f16_e32 v64, 0x3722, v59
	s_movk_i32 s30, 0x3a62
	s_movk_i32 s27, 0x3bf7
	v_mul_f16_e32 v66, 0x2de8, v59
	v_mul_f16_sdwa v68, v16, s23 dst_sel:DWORD dst_unused:UNUSED_PAD src0_sel:WORD_1 src1_sel:DWORD
	v_mul_f16_e32 v70, 0xb461, v59
	v_mul_f16_sdwa v72, v16, s9 dst_sel:DWORD dst_unused:UNUSED_PAD src0_sel:WORD_1 src1_sel:DWORD
	;; [unrolled: 2-line block ×4, first 2 shown]
	v_fma_f16 v63, v20, s5, v62
	v_fma_f16 v65, v16, s26, v64
	v_fma_f16 v67, v16, s27, v66
	v_fma_f16 v69, v20, s10, v68
	v_fma_f16 v71, v16, s28, v70
	v_fma_f16 v73, v20, s11, v72
	v_fma_f16 v75, v16, s30, v74
	v_fma_f16 v77, v20, s17, v76
	v_fma_f16 v78, v16, s31, v59
	v_fma_f16 v80, v20, s20, v79
	v_fma_f16 v59, v16, s18, v59
	v_fma_f16 v79, v20, s20, -v79
	v_fma_f16 v74, v16, s16, v74
	v_fma_f16 v76, v20, s17, -v76
	v_fma_f16 v70, v16, s9, v70
	;; [unrolled: 2-line block ×4, first 2 shown]
	v_fma_f16 v62, v20, s5, -v62
	v_add_f16_e32 v63, v63, v2
	v_add_f16_sdwa v65, v65, v2 dst_sel:DWORD dst_unused:UNUSED_PAD src0_sel:DWORD src1_sel:WORD_1
	v_add_f16_sdwa v67, v67, v2 dst_sel:DWORD dst_unused:UNUSED_PAD src0_sel:DWORD src1_sel:WORD_1
	v_add_f16_e32 v69, v69, v2
	v_add_f16_sdwa v71, v71, v2 dst_sel:DWORD dst_unused:UNUSED_PAD src0_sel:DWORD src1_sel:WORD_1
	v_add_f16_e32 v73, v73, v2
	;; [unrolled: 2-line block ×10, first 2 shown]
	v_alignbit_b32 v2, v2, v2, 16
	v_pk_add_f16 v3, v3, v2 op_sel:[0,1] op_sel_hi:[1,0]
	v_alignbit_b32 v46, v46, v46, 16
	v_pk_add_f16 v3, v46, v3
	v_pk_add_f16 v3, v17, v3
	;; [unrolled: 1-line block ×14, first 2 shown]
	v_mul_f16_sdwa v5, v22, s23 dst_sel:DWORD dst_unused:UNUSED_PAD src0_sel:WORD_1 src1_sel:DWORD
	v_fma_f16 v3, v36, s10, v5
	v_mul_f16_sdwa v6, v19, s16 dst_sel:DWORD dst_unused:UNUSED_PAD src0_sel:WORD_1 src1_sel:DWORD
	v_add_f16_e32 v3, v3, v63
	v_fma_f16 v7, v24, s17, v6
	v_add_f16_e32 v3, v7, v3
	v_mul_f16_sdwa v7, v21, s19 dst_sel:DWORD dst_unused:UNUSED_PAD src0_sel:WORD_1 src1_sel:DWORD
	v_fma_f16 v8, v25, s21, v7
	v_add_f16_e32 v3, v8, v3
	v_mul_f16_sdwa v8, v23, s31 dst_sel:DWORD dst_unused:UNUSED_PAD src0_sel:WORD_1 src1_sel:DWORD
	;; [unrolled: 3-line block ×4, first 2 shown]
	v_fma_f16 v11, v34, s8, v10
	s_movk_i32 s29, 0x35c8
	v_add_f16_e32 v3, v11, v3
	v_mul_f16_sdwa v11, v33, s29 dst_sel:DWORD dst_unused:UNUSED_PAD src0_sel:WORD_1 src1_sel:DWORD
	v_fma_f16 v12, v35, s4, v11
	v_add_f16_e32 v3, v12, v3
	v_mul_f16_e32 v12, 0xb8d2, v18
	v_fma_f16 v13, v22, s30, v12
	v_mul_f16_e32 v14, 0xbbdd, v39
	v_add_f16_e32 v13, v13, v65
	v_fma_f16 v15, v19, s19, v14
	v_add_f16_e32 v13, v15, v13
	v_mul_f16_e32 v15, 0xb461, v40
	v_fma_f16 v17, v21, s9, v15
	v_add_f16_e32 v13, v17, v13
	v_mul_f16_e32 v17, 0x39e9, v18
	v_add_f16_e32 v17, v48, v17
	v_mul_f16_e32 v46, 0x3722, v39
	v_add_f16_e32 v17, v17, v61
	v_add_f16_e32 v46, v50, v46
	;; [unrolled: 1-line block ×3, first 2 shown]
	v_mul_f16_e32 v46, 0x2de8, v40
	v_add_f16_e32 v46, v52, v46
	v_add_f16_e32 v17, v46, v17
	v_mul_f16_e32 v46, 0xb461, v41
	v_add_f16_e32 v46, v54, v46
	v_add_f16_e32 v17, v46, v17
	;; [unrolled: 3-line block ×5, first 2 shown]
	v_mul_f16_e32 v46, 0x39e9, v36
	v_sub_f16_e32 v44, v46, v44
	v_mul_f16_e32 v46, 0x3722, v24
	v_add_f16_e32 v44, v44, v60
	v_sub_f16_e32 v45, v46, v45
	v_add_f16_e32 v44, v45, v44
	v_mul_f16_e32 v45, 0x2de8, v25
	v_sub_f16_e32 v45, v45, v47
	v_add_f16_e32 v44, v45, v44
	v_mul_f16_e32 v45, 0xb461, v27
	;; [unrolled: 3-line block ×5, first 2 shown]
	v_sub_f16_e32 v45, v45, v55
	v_add_f16_e32 v44, v45, v44
	v_pk_add_f16 v4, v43, v4
	v_mul_lo_u16_e32 v43, 17, v0
	v_pack_b32_f16 v17, v44, v17
	v_lshlrev_b32_e32 v43, 2, v43
	ds_write2_b32 v43, v4, v17 offset1:1
	v_mul_f16_e32 v4, 0x39e9, v41
	v_fma_f16 v17, v23, s25, v4
	v_add_f16_e32 v13, v17, v13
	v_mul_f16_e32 v17, 0x3b76, v42
	v_fma_f16 v44, v26, s29, v17
	v_add_f16_e32 v13, v44, v13
	;; [unrolled: 3-line block ×4, first 2 shown]
	s_movk_i32 s34, 0x31e1
	v_mul_f16_e32 v46, 0xbbdd, v18
	v_fma_f16 v47, v22, s34, v46
	v_mul_f16_e32 v48, 0xb461, v39
	v_add_f16_e32 v47, v47, v67
	v_fma_f16 v49, v19, s9, v48
	v_add_f16_e32 v47, v49, v47
	v_mul_f16_e32 v49, 0x3b76, v40
	v_fma_f16 v50, v21, s22, v49
	v_add_f16_e32 v47, v50, v47
	v_mul_f16_e32 v50, 0x3722, v41
	;; [unrolled: 3-line block ×3, first 2 shown]
	v_fma_f16 v52, v26, s31, v51
	v_add_f16_e32 v47, v52, v47
	v_mul_f16_sdwa v52, v22, s19 dst_sel:DWORD dst_unused:UNUSED_PAD src0_sel:WORD_1 src1_sel:DWORD
	v_fma_f16 v53, v36, s21, v52
	v_mul_f16_sdwa v54, v19, s28 dst_sel:DWORD dst_unused:UNUSED_PAD src0_sel:WORD_1 src1_sel:DWORD
	v_add_f16_e32 v53, v53, v69
	v_fma_f16 v55, v24, s11, v54
	v_add_f16_e32 v53, v55, v53
	v_mul_f16_sdwa v55, v21, s29 dst_sel:DWORD dst_unused:UNUSED_PAD src0_sel:WORD_1 src1_sel:DWORD
	v_fma_f16 v56, v25, s4, v55
	v_add_f16_e32 v53, v56, v53
	v_mul_f16_sdwa v56, v23, s24 dst_sel:DWORD dst_unused:UNUSED_PAD src0_sel:WORD_1 src1_sel:DWORD
	;; [unrolled: 3-line block ×4, first 2 shown]
	v_fma_f16 v60, v34, s17, v58
	s_movk_i32 s33, 0x3964
	v_add_f16_e32 v53, v60, v53
	v_mul_f16_sdwa v60, v33, s33 dst_sel:DWORD dst_unused:UNUSED_PAD src0_sel:WORD_1 src1_sel:DWORD
	v_fma_f16 v61, v35, s5, v60
	v_add_f16_e32 v53, v61, v53
	v_mul_f16_e32 v61, 0xbacd, v18
	v_fma_f16 v63, v22, s18, v61
	v_mul_f16_e32 v65, 0x39e9, v39
	v_add_f16_e32 v63, v63, v71
	v_fma_f16 v67, v19, s25, v65
	v_add_f16_e32 v63, v67, v63
	v_mul_f16_e32 v67, 0x3722, v40
	v_fma_f16 v69, v21, s26, v67
	v_add_f16_e32 v63, v69, v63
	v_mul_f16_e32 v69, 0xbbdd, v41
	;; [unrolled: 3-line block ×5, first 2 shown]
	v_fma_f16 v83, v33, s30, v82
	v_add_f16_e32 v63, v83, v63
	v_mul_f16_sdwa v83, v22, s31 dst_sel:DWORD dst_unused:UNUSED_PAD src0_sel:WORD_1 src1_sel:DWORD
	v_fma_f16 v84, v36, s20, v83
	v_add_f16_e32 v73, v84, v73
	v_mul_f16_sdwa v84, v19, s33 dst_sel:DWORD dst_unused:UNUSED_PAD src0_sel:WORD_1 src1_sel:DWORD
	;; [unrolled: 3-line block ×7, first 2 shown]
	v_fma_f16 v90, v35, s17, v89
	v_add_f16_e32 v73, v90, v73
	v_mul_f16_e32 v90, 0xb461, v18
	v_fma_f16 v91, v22, s9, v90
	v_add_f16_e32 v75, v91, v75
	v_mul_f16_e32 v91, 0x3b76, v39
	;; [unrolled: 3-line block ×7, first 2 shown]
	v_fma_f16 v97, v33, s24, v96
	v_add_f16_e32 v75, v97, v75
	v_mul_f16_sdwa v97, v22, s28 dst_sel:DWORD dst_unused:UNUSED_PAD src0_sel:WORD_1 src1_sel:DWORD
	v_fma_f16 v98, v36, s11, v97
	v_add_f16_e32 v77, v98, v77
	v_mul_f16_sdwa v98, v19, s22 dst_sel:DWORD dst_unused:UNUSED_PAD src0_sel:WORD_1 src1_sel:DWORD
	;; [unrolled: 3-line block ×7, first 2 shown]
	v_fma_f16 v104, v35, s8, v103
	v_add_f16_e32 v77, v104, v77
	v_mul_f16_e32 v104, 0x3722, v18
	v_fma_f16 v105, v22, s24, v104
	v_mul_f16_e32 v39, 0x2de8, v39
	v_add_f16_e32 v78, v105, v78
	v_fma_f16 v105, v19, s27, v39
	v_mul_f16_e32 v40, 0xb8d2, v40
	v_add_f16_e32 v78, v105, v78
	;; [unrolled: 3-line block ×4, first 2 shown]
	v_fma_f16 v105, v26, s34, v42
	v_add_f16_e32 v78, v105, v78
	v_mul_f16_e32 v105, 0x39e9, v37
	v_fma_f16 v106, v31, s25, v105
	v_add_f16_e32 v78, v106, v78
	v_mul_f16_e32 v106, 0xb461, v38
	v_fma_f16 v107, v33, s28, v106
	v_add_f16_e32 v78, v107, v78
	v_mul_f16_sdwa v107, v22, s26 dst_sel:DWORD dst_unused:UNUSED_PAD src0_sel:WORD_1 src1_sel:DWORD
	v_fma_f16 v104, v22, s26, v104
	v_fma_f16 v108, v36, s8, v107
	v_add_f16_e32 v59, v104, v59
	v_fma_f16 v39, v19, s23, v39
	v_add_f16_e32 v80, v108, v80
	v_mul_f16_sdwa v108, v19, s23 dst_sel:DWORD dst_unused:UNUSED_PAD src0_sel:WORD_1 src1_sel:DWORD
	v_add_f16_e32 v39, v39, v59
	v_fma_f16 v40, v21, s30, v40
	v_fma_f16 v109, v24, s10, v108
	v_add_f16_e32 v39, v40, v39
	v_fma_f16 v40, v23, s22, v41
	v_add_f16_e32 v80, v109, v80
	v_mul_f16_sdwa v109, v21, s30 dst_sel:DWORD dst_unused:UNUSED_PAD src0_sel:WORD_1 src1_sel:DWORD
	v_add_f16_e32 v39, v40, v39
	;; [unrolled: 7-line block ×3, first 2 shown]
	v_fma_f16 v40, v33, s9, v106
	v_fma_f16 v111, v27, s4, v110
	v_add_f16_e32 v39, v40, v39
	v_fma_f16 v40, v36, s8, -v107
	v_add_f16_e32 v80, v111, v80
	v_mul_f16_sdwa v111, v26, s19 dst_sel:DWORD dst_unused:UNUSED_PAD src0_sel:WORD_1 src1_sel:DWORD
	v_add_f16_e32 v40, v40, v79
	v_fma_f16 v41, v24, s10, -v108
	v_fma_f16 v112, v32, s21, v111
	v_add_f16_e32 v40, v41, v40
	v_fma_f16 v41, v25, s17, -v109
	v_add_f16_e32 v80, v112, v80
	v_mul_f16_sdwa v112, v31, s33 dst_sel:DWORD dst_unused:UNUSED_PAD src0_sel:WORD_1 src1_sel:DWORD
	v_add_f16_e32 v40, v41, v40
	v_fma_f16 v41, v27, s4, -v110
	;; [unrolled: 7-line block ×3, first 2 shown]
	v_add_f16_e32 v40, v41, v40
	v_fma_f16 v41, v35, s11, -v113
	v_add_f16_e32 v40, v41, v40
	v_fma_f16 v41, v22, s28, v90
	v_add_f16_e32 v41, v41, v74
	v_fma_f16 v42, v19, s22, v91
	;; [unrolled: 2-line block ×5, first 2 shown]
	v_fma_f16 v46, v22, s19, v46
	v_add_f16_e32 v41, v42, v41
	v_fma_f16 v42, v31, s19, v95
	v_add_f16_e32 v46, v46, v66
	;; [unrolled: 2-line block ×5, first 2 shown]
	v_fma_f16 v42, v36, s11, -v97
	v_add_f16_e32 v46, v48, v46
	v_fma_f16 v48, v23, s24, v50
	v_add_f16_e32 v42, v42, v76
	v_fma_f16 v59, v24, s4, -v98
	v_add_f16_e32 v46, v48, v46
	v_fma_f16 v48, v26, s18, v51
	v_mul_f16_e32 v37, 0xb8d2, v37
	v_add_f16_e32 v42, v59, v42
	v_fma_f16 v59, v25, s20, -v99
	v_add_f16_e32 v46, v48, v46
	v_fma_f16 v48, v31, s30, v37
	v_mul_f16_e32 v38, 0x39e9, v38
	v_add_f16_e32 v42, v59, v42
	v_fma_f16 v59, v27, s10, -v100
	v_add_f16_e32 v46, v48, v46
	v_fma_f16 v48, v33, s33, v38
	v_add_f16_e32 v42, v59, v42
	v_fma_f16 v59, v32, s5, -v101
	v_add_f16_e32 v46, v48, v46
	v_fma_f16 v48, v36, s21, -v52
	;; [unrolled: 2-line block ×4, first 2 shown]
	v_fma_f16 v5, v36, s10, -v5
	v_add_f16_e32 v42, v59, v42
	v_fma_f16 v59, v35, s8, -v103
	v_add_f16_e32 v48, v49, v48
	;; [unrolled: 2-line block ×4, first 2 shown]
	v_fma_f16 v59, v22, s31, v61
	v_add_f16_e32 v48, v49, v48
	v_fma_f16 v49, v27, s8, -v56
	v_fma_f16 v12, v22, s16, v12
	v_add_f16_e32 v5, v6, v5
	v_fma_f16 v7, v25, s21, -v7
	v_add_f16_e32 v59, v59, v70
	v_fma_f16 v61, v19, s33, v65
	v_add_f16_e32 v48, v49, v48
	v_fma_f16 v49, v32, s20, -v57
	v_add_f16_e32 v12, v12, v64
	;; [unrolled: 4-line block ×3, first 2 shown]
	v_fma_f16 v61, v21, s24, v67
	v_add_f16_e32 v48, v49, v48
	s_mov_b32 s24, 0x39e93722
	v_fma_f16 v49, v34, s17, -v58
	v_add_f16_e32 v12, v14, v12
	v_fma_f16 v15, v21, s28, v15
	v_add_f16_e32 v5, v8, v5
	v_fma_f16 v9, v32, s11, -v9
	v_add_f16_e32 v48, v49, v48
	v_pk_mul_f16 v49, v20, s24
	s_mov_b32 s24, 0xbb29b964
	v_fma_f16 v50, v35, s5, -v60
	s_mov_b32 s30, 0xba62bbf7
	v_add_f16_e32 v12, v15, v12
	v_fma_f16 v4, v23, s33, v4
	v_add_f16_e32 v5, v9, v5
	v_fma_f16 v10, v34, s8, -v10
	v_add_f16_e32 v59, v61, v59
	v_fma_f16 v61, v23, s19, v69
	v_add_f16_e32 v48, v50, v48
	v_pk_fma_f16 v50, v16, s24, v49 op_sel:[0,0,1] op_sel_hi:[1,1,0] neg_lo:[1,0,0] neg_hi:[1,0,0]
	s_mov_b32 s25, 0xb8d22de8
	v_pk_mul_f16 v51, v22, s30
	s_mov_b32 s30, 0xb8d2bbdd
	v_add_f16_e32 v4, v4, v12
	v_fma_f16 v17, v26, s22, v17
	v_add_f16_e32 v5, v10, v5
	v_fma_f16 v11, v35, s4, -v11
	v_pk_fma_f16 v49, v16, s24, v49 op_sel:[0,0,1] op_sel_hi:[1,1,0]
	s_mov_b32 s24, 0xffff
	v_add_f16_e32 v59, v61, v59
	v_fma_f16 v61, v26, s27, v71
	v_pk_fma_f16 v14, v18, s25, v51 neg_lo:[0,0,1] neg_hi:[0,0,1]
	v_pk_mul_f16 v15, v24, s30
	s_mov_b32 s28, 0x31e1ba62
	s_mov_b32 s30, 0xbbddb461
	v_add_f16_e32 v4, v17, v4
	v_fma_f16 v44, v31, s23, v44
	v_add_f16_e32 v5, v11, v5
	v_add_f16_e32 v11, v50, v2
	v_bfi_b32 v50, s24, v49, v50
	v_pk_fma_f16 v51, v18, s25, v51
	v_add_f16_e32 v59, v61, v59
	v_fma_f16 v61, v31, s22, v81
	v_pk_fma_f16 v12, v19, s28, v15 op_sel:[0,0,1] op_sel_hi:[1,1,0] neg_lo:[1,0,0] neg_hi:[1,0,0]
	v_pk_mul_f16 v17, v25, s30
	s_mov_b32 s22, 0x3bb2b1e1
	v_add_f16_e32 v4, v44, v4
	s_mov_b32 s23, 0xbacd39e9
	v_fma_f16 v45, v33, s18, v45
	v_add_f16_e32 v11, v14, v11
	v_bfi_b32 v14, s24, v51, v14
	v_pk_fma_f16 v15, v19, s28, v15 op_sel:[0,0,1] op_sel_hi:[1,1,0]
	v_pk_add_f16 v50, v50, v2
	v_add_f16_e32 v59, v61, v59
	v_fma_f16 v61, v33, s16, v82
	v_pk_fma_f16 v44, v21, s22, v17 op_sel:[0,0,1] op_sel_hi:[1,1,0] neg_lo:[1,0,0] neg_hi:[1,0,0]
	v_add_f16_e32 v4, v45, v4
	v_pk_mul_f16 v45, v27, s23
	s_mov_b32 s23, 0x39643836
	s_mov_b32 s30, 0xb4613b76
	v_add_f16_e32 v11, v12, v11
	v_pk_fma_f16 v17, v21, s22, v17 op_sel:[0,0,1] op_sel_hi:[1,1,0]
	v_pk_add_f16 v14, v14, v50
	v_bfi_b32 v12, s24, v15, v12
	v_add_f16_e32 v59, v61, v59
	v_fma_f16 v61, v36, s20, -v83
	v_pk_fma_f16 v36, v23, s23, v45 op_sel:[0,0,1] op_sel_hi:[1,1,0] neg_lo:[1,0,0] neg_hi:[1,0,0]
	v_pk_mul_f16 v52, v32, s30
	s_mov_b32 s30, 0xb5c83bb2
	s_mov_b32 s31, 0x37222de8
	v_add_f16_e32 v11, v44, v11
	v_pk_fma_f16 v45, v23, s23, v45 op_sel:[0,0,1] op_sel_hi:[1,1,0]
	v_pk_add_f16 v12, v12, v14
	v_bfi_b32 v14, s24, v17, v44
	v_add_f16_e32 v61, v61, v72
	v_fma_f16 v65, v24, s5, -v84
	v_pk_fma_f16 v6, v26, s30, v52 op_sel:[0,0,1] op_sel_hi:[1,1,0] neg_lo:[1,0,0] neg_hi:[1,0,0]
	v_pk_mul_f16 v7, v34, s31
	s_mov_b32 s31, 0xbbf73b29
	v_add_f16_e32 v11, v36, v11
	v_pk_fma_f16 v52, v26, s30, v52 op_sel:[0,0,1] op_sel_hi:[1,1,0]
	v_pk_add_f16 v12, v14, v12
	v_bfi_b32 v14, s24, v45, v36
	v_add_f16_e32 v61, v65, v61
	v_fma_f16 v65, v25, s8, -v85
	v_pk_fma_f16 v8, v31, s31, v7 op_sel:[0,0,1] op_sel_hi:[1,1,0] neg_lo:[1,0,0] neg_hi:[1,0,0]
	s_mov_b32 s34, 0x3b76bacd
	v_add_f16_e32 v11, v6, v11
	v_pk_fma_f16 v7, v31, s31, v7 op_sel:[0,0,1] op_sel_hi:[1,1,0]
	v_pk_add_f16 v12, v14, v12
	v_bfi_b32 v6, s24, v52, v6
	v_add_f16_e32 v61, v65, v61
	v_fma_f16 v65, v27, s21, -v86
	v_pk_mul_f16 v9, v35, s34
	s_mov_b32 s34, 0xb83635c8
	v_pk_add_f16 v49, v49, v2
	v_add_f16_e32 v11, v8, v11
	v_pk_add_f16 v6, v6, v12
	v_bfi_b32 v8, s24, v7, v8
	v_add_f16_e32 v61, v65, v61
	v_fma_f16 v65, v32, s10, -v87
	v_pk_add_f16 v49, v51, v49
	v_pk_fma_f16 v51, v33, s34, v9 op_sel:[0,0,1] op_sel_hi:[1,1,0] neg_lo:[1,0,0] neg_hi:[1,0,0]
	v_pk_add_f16 v6, v8, v6
	v_pk_fma_f16 v8, v33, s34, v9 op_sel:[0,0,1] op_sel_hi:[1,1,0]
	v_add_f16_e32 v61, v65, v61
	v_fma_f16 v65, v34, s4, -v88
	v_bfi_b32 v8, s24, v8, v51
	v_add_f16_e32 v61, v65, v61
	v_fma_f16 v65, v35, s17, -v89
	v_pk_add_f16 v6, v8, v6
	v_add_f16_e32 v61, v65, v61
	v_alignbit_b32 v4, v4, v6, 16
	v_pack_b32_f16 v5, v5, v6
	ds_write2_b32 v43, v5, v4 offset0:2 offset1:3
	v_pack_b32_f16 v4, v61, v59
	v_pack_b32_f16 v5, v48, v46
	ds_write2_b32 v43, v5, v4 offset0:4 offset1:5
	v_pack_b32_f16 v4, v40, v39
	v_pack_b32_f16 v5, v42, v41
	ds_write2_b32 v43, v5, v4 offset0:6 offset1:7
	v_pk_mul_f16 v4, v20, s21 op_sel_hi:[1,0]
	v_pk_fma_f16 v5, v16, s19, v4 op_sel:[0,0,1] op_sel_hi:[1,0,0] neg_lo:[1,0,0] neg_hi:[1,0,0]
	v_pk_mul_f16 v6, v22, s29 op_sel_hi:[1,0]
	v_pk_add_f16 v5, v5, v2
	v_pk_fma_f16 v8, v18, s4, v6 op_sel_hi:[1,0,1] neg_lo:[0,0,1] neg_hi:[0,0,1]
	v_pk_add_f16 v5, v8, v5
	v_pk_mul_f16 v8, v24, s20 op_sel_hi:[1,0]
	v_pk_fma_f16 v12, v19, s18, v8 op_sel:[0,0,1] op_sel_hi:[1,0,0] neg_lo:[1,0,0] neg_hi:[1,0,0]
	v_pk_add_f16 v5, v12, v5
	v_pk_mul_f16 v12, v25, s5 op_sel_hi:[1,0]
	v_pk_fma_f16 v14, v21, s33, v12 op_sel:[0,0,1] op_sel_hi:[1,0,0] neg_lo:[1,0,0] neg_hi:[1,0,0]
	v_pk_add_f16 v5, v14, v5
	v_pk_mul_f16 v14, v27, s17 op_sel_hi:[1,0]
	v_pk_fma_f16 v4, v16, s19, v4 op_sel:[0,0,1] op_sel_hi:[1,0,0]
	v_pk_add_f16 v49, v15, v49
	v_pk_fma_f16 v15, v23, s16, v14 op_sel:[0,0,1] op_sel_hi:[1,0,0] neg_lo:[1,0,0] neg_hi:[1,0,0]
	v_pk_add_f16 v2, v4, v2
	v_pk_fma_f16 v4, v18, s4, v6 op_sel_hi:[1,0,1]
	v_pk_add_f16 v5, v15, v5
	v_pk_mul_f16 v15, v32, s8 op_sel_hi:[1,0]
	v_pk_add_f16 v2, v4, v2
	v_pk_fma_f16 v4, v19, s18, v8 op_sel:[0,0,1] op_sel_hi:[1,0,0]
	v_pk_add_f16 v49, v17, v49
	v_pk_fma_f16 v17, v26, s26, v15 op_sel:[0,0,1] op_sel_hi:[1,0,0] neg_lo:[1,0,0] neg_hi:[1,0,0]
	v_pk_add_f16 v2, v4, v2
	v_pk_fma_f16 v4, v21, s33, v12 op_sel:[0,0,1] op_sel_hi:[1,0,0]
	v_pk_add_f16 v5, v17, v5
	v_pk_mul_f16 v17, v34, s11 op_sel_hi:[1,0]
	v_pk_add_f16 v2, v4, v2
	v_pk_fma_f16 v4, v23, s16, v14 op_sel:[0,0,1] op_sel_hi:[1,0,0]
	v_pk_fma_f16 v20, v31, s9, v17 op_sel:[0,0,1] op_sel_hi:[1,0,0] neg_lo:[1,0,0] neg_hi:[1,0,0]
	v_pk_add_f16 v2, v4, v2
	v_pk_fma_f16 v4, v26, s26, v15 op_sel:[0,0,1] op_sel_hi:[1,0,0]
	v_pk_add_f16 v5, v20, v5
	v_pk_mul_f16 v20, v35, s10 op_sel_hi:[1,0]
	v_pk_add_f16 v2, v4, v2
	v_pk_fma_f16 v4, v31, s9, v17 op_sel:[0,0,1] op_sel_hi:[1,0,0]
	v_pk_fma_f16 v22, v33, s27, v20 op_sel:[0,0,1] op_sel_hi:[1,0,0] neg_lo:[1,0,0] neg_hi:[1,0,0]
	v_pk_add_f16 v2, v4, v2
	v_pk_fma_f16 v4, v33, s27, v20 op_sel:[0,0,1] op_sel_hi:[1,0,0]
	v_fma_f16 v114, v35, s11, v113
	v_pk_add_f16 v5, v22, v5
	v_pk_add_f16 v2, v4, v2
	v_add_f16_e32 v80, v114, v80
	v_alignbit_b32 v4, v5, v2, 16
	v_alignbit_b32 v2, v2, v5, 16
	ds_write2_b32 v43, v2, v4 offset0:8 offset1:9
	v_pack_b32_f16 v2, v77, v75
	v_pack_b32_f16 v4, v80, v78
	v_pk_mul_f16 v10, v33, s34
	v_pk_add_f16 v49, v45, v49
	v_fma_f16 v37, v31, s16, v37
	ds_write2_b32 v43, v4, v2 offset0:10 offset1:11
	v_pack_b32_f16 v2, v73, v63
	v_pk_add_f16 v49, v52, v49
	v_mul_f16_e32 v50, 0x3964, v33
	ds_write_b32 v43, v2 offset:48
	v_pack_b32_f16 v2, v37, v9
	v_bfi_b32 v4, s24, v47, v10
	v_pk_add_f16 v2, v2, v4
	v_bfi_b32 v4, s24, v50, v49
	v_pk_add_f16 v4, v38, v4 neg_lo:[0,1] neg_hi:[0,1]
	v_pk_add_f16 v5, v7, v49
	v_bfi_b32 v4, s24, v4, v5
	v_pk_add_f16 v2, v4, v2
	v_add_f16_e32 v11, v51, v11
	v_alignbit_b32 v4, v13, v2, 16
	v_pack_b32_f16 v2, v53, v2
	s_mov_b32 s4, 0x5040100
	ds_write2_b32 v43, v2, v4 offset0:13 offset1:14
	v_pack_b32_f16 v2, v3, v11
	v_perm_b32 v3, v29, v28, s4
	ds_write2_b32 v43, v2, v3 offset0:15 offset1:16
.LBB0_7:
	s_or_b64 exec, exec, s[2:3]
	s_load_dwordx4 s[8:11], s[0:1], 0x0
	s_movk_i32 s0, 0xf1
	v_mul_lo_u16_sdwa v2, v0, s0 dst_sel:DWORD dst_unused:UNUSED_PAD src0_sel:BYTE_0 src1_sel:DWORD
	v_add_u16_e32 v5, 51, v0
	v_lshrrev_b16_e32 v26, 12, v2
	v_mul_lo_u16_sdwa v8, v5, s0 dst_sel:DWORD dst_unused:UNUSED_PAD src0_sel:BYTE_0 src1_sel:DWORD
	v_mul_lo_u16_e32 v2, 17, v26
	v_lshrrev_b16_e32 v41, 12, v8
	v_add_u16_e32 v4, 0x66, v0
	v_sub_u16_e32 v27, v0, v2
	v_mul_lo_u16_e32 v2, 17, v41
	v_mul_lo_u16_sdwa v7, v4, s0 dst_sel:DWORD dst_unused:UNUSED_PAD src0_sel:BYTE_0 src1_sel:DWORD
	v_sub_u16_e32 v2, v5, v2
	v_lshrrev_b16_e32 v43, 12, v7
	v_and_b32_e32 v42, 0xff, v2
	v_mul_lo_u16_e32 v2, 17, v43
	v_sub_u16_e32 v2, v4, v2
	v_and_b32_e32 v44, 0xff, v2
	v_add_u16_e32 v2, 0x99, v0
	v_mov_b32_e32 v25, 2
	v_mul_lo_u16_sdwa v6, v2, s0 dst_sel:DWORD dst_unused:UNUSED_PAD src0_sel:BYTE_0 src1_sel:DWORD
	v_lshlrev_b32_sdwa v9, v25, v27 dst_sel:DWORD dst_unused:UNUSED_PAD src0_sel:DWORD src1_sel:BYTE_0
	v_lshrrev_b16_e32 v45, 12, v6
	s_waitcnt lgkmcnt(0)
	; wave barrier
	s_waitcnt lgkmcnt(0)
	v_mul_lo_u16_e32 v3, 17, v45
	global_load_dword v32, v9, s[14:15]
	v_lshlrev_b32_e32 v10, 2, v42
	global_load_dword v33, v10, s[14:15]
	v_sub_u16_e32 v3, v2, v3
	v_add_u16_e32 v48, 0xcc, v0
	v_and_b32_e32 v46, 0xff, v3
	v_mul_lo_u16_sdwa v3, v48, s0 dst_sel:DWORD dst_unused:UNUSED_PAD src0_sel:BYTE_0 src1_sel:DWORD
	v_add_u16_e32 v49, 0xff, v0
	v_lshlrev_b32_e32 v11, 2, v44
	global_load_dword v34, v11, s[14:15]
	v_lshrrev_b16_e32 v47, 12, v3
	v_mul_u32_u24_e32 v52, 0xf0f1, v49
	v_mul_lo_u16_e32 v13, 17, v47
	v_lshrrev_b32_e32 v56, 20, v52
	v_lshlrev_b32_e32 v12, 2, v46
	v_sub_u16_e32 v9, v48, v13
	v_mul_lo_u16_e32 v10, 17, v56
	v_add_u16_e32 v50, 0x132, v0
	v_and_b32_e32 v53, 0xff, v9
	v_sub_u16_e32 v57, v49, v10
	global_load_dword v35, v12, s[14:15]
	v_mul_u32_u24_e32 v11, 0xf0f1, v50
	v_lshlrev_b32_e32 v9, 2, v53
	v_lshlrev_b32_e32 v10, 2, v57
	v_lshrrev_b32_e32 v58, 20, v11
	global_load_dword v36, v9, s[14:15]
	global_load_dword v37, v10, s[14:15]
	v_mul_lo_u16_e32 v9, 17, v58
	v_add_u16_e32 v51, 0x165, v0
	v_sub_u16_e32 v59, v50, v9
	v_mul_u32_u24_e32 v10, 0xf0f1, v51
	v_lshlrev_b32_e32 v9, 2, v59
	v_lshrrev_b32_e32 v60, 20, v10
	global_load_dword v38, v9, s[14:15]
	v_mul_lo_u16_e32 v9, 17, v60
	v_sub_u16_e32 v61, v51, v9
	v_lshlrev_b32_e32 v9, 2, v61
	global_load_dword v39, v9, s[14:15]
	v_lshlrev_b32_sdwa v31, v25, v0 dst_sel:DWORD dst_unused:UNUSED_PAD src0_sel:DWORD src1_sel:WORD_0
	v_add_u32_e32 v62, 0x400, v31
	ds_read2_b32 v[11:12], v62 offset0:152 offset1:203
	v_add_u32_e32 v15, 0x600, v31
	ds_read2_b32 v[15:16], v15 offset0:126 offset1:177
	v_add_u32_e32 v67, 0x800, v31
	ds_read2_b32 v[19:20], v67 offset0:100 offset1:151
	s_waitcnt lgkmcnt(2)
	v_lshrrev_b32_e32 v54, 16, v11
	v_lshrrev_b32_e32 v63, 16, v12
	s_waitcnt lgkmcnt(1)
	v_lshrrev_b32_e32 v65, 16, v15
	v_lshrrev_b32_e32 v68, 16, v16
	ds_read2_b32 v[9:10], v31 offset1:51
	ds_read2_b32 v[13:14], v31 offset0:102 offset1:153
	ds_read2_b32 v[17:18], v31 offset0:204 offset1:255
	;; [unrolled: 1-line block ×4, first 2 shown]
	s_waitcnt lgkmcnt(5)
	v_lshrrev_b32_e32 v70, 16, v19
	v_lshrrev_b32_e32 v72, 16, v20
	s_waitcnt lgkmcnt(4)
	v_lshrrev_b32_e32 v40, 16, v9
	v_mad_legacy_u16 v26, v26, 34, v27
	s_waitcnt lgkmcnt(0)
	v_lshrrev_b32_e32 v74, 16, v23
	v_lshrrev_b32_e32 v76, 16, v24
	;; [unrolled: 1-line block ×3, first 2 shown]
	v_lshlrev_b32_sdwa v127, v25, v26 dst_sel:DWORD dst_unused:UNUSED_PAD src0_sel:DWORD src1_sel:BYTE_0
	s_waitcnt lgkmcnt(0)
	; wave barrier
	v_lshrrev_b32_e32 v64, 16, v13
	v_lshrrev_b32_e32 v66, 16, v14
	;; [unrolled: 1-line block ×6, first 2 shown]
	v_cmp_gt_u16_e64 s[0:1], 17, v0
	s_waitcnt vmcnt(7)
	v_mul_f16_sdwa v77, v54, v32 dst_sel:DWORD dst_unused:UNUSED_PAD src0_sel:DWORD src1_sel:WORD_1
	v_fma_f16 v77, v11, v32, -v77
	v_mul_f16_sdwa v11, v11, v32 dst_sel:DWORD dst_unused:UNUSED_PAD src0_sel:DWORD src1_sel:WORD_1
	v_fma_f16 v11, v54, v32, v11
	s_waitcnt vmcnt(6)
	v_mul_f16_sdwa v54, v63, v33 dst_sel:DWORD dst_unused:UNUSED_PAD src0_sel:DWORD src1_sel:WORD_1
	v_fma_f16 v54, v12, v33, -v54
	v_mul_f16_sdwa v12, v12, v33 dst_sel:DWORD dst_unused:UNUSED_PAD src0_sel:DWORD src1_sel:WORD_1
	v_fma_f16 v12, v63, v33, v12
	v_sub_f16_e32 v11, v40, v11
	s_waitcnt vmcnt(5)
	v_mul_f16_sdwa v63, v65, v34 dst_sel:DWORD dst_unused:UNUSED_PAD src0_sel:DWORD src1_sel:WORD_1
	v_fma_f16 v63, v15, v34, -v63
	v_mul_f16_sdwa v15, v15, v34 dst_sel:DWORD dst_unused:UNUSED_PAD src0_sel:DWORD src1_sel:WORD_1
	v_fma_f16 v15, v65, v34, v15
	v_sub_f16_e32 v78, v10, v54
	v_sub_f16_e32 v12, v55, v12
	v_fma_f16 v10, v10, 2.0, -v78
	v_fma_f16 v79, v55, 2.0, -v12
	v_sub_f16_e32 v63, v13, v63
	v_sub_f16_e32 v15, v64, v15
	v_fma_f16 v13, v13, 2.0, -v63
	s_waitcnt vmcnt(4)
	v_mul_f16_sdwa v65, v68, v35 dst_sel:DWORD dst_unused:UNUSED_PAD src0_sel:DWORD src1_sel:WORD_1
	v_fma_f16 v65, v16, v35, -v65
	v_mul_f16_sdwa v16, v16, v35 dst_sel:DWORD dst_unused:UNUSED_PAD src0_sel:DWORD src1_sel:WORD_1
	v_fma_f16 v16, v68, v35, v16
	v_fma_f16 v64, v64, 2.0, -v15
	s_waitcnt vmcnt(3)
	v_mul_f16_sdwa v68, v70, v36 dst_sel:DWORD dst_unused:UNUSED_PAD src0_sel:DWORD src1_sel:WORD_1
	v_fma_f16 v68, v19, v36, -v68
	v_mul_f16_sdwa v19, v19, v36 dst_sel:DWORD dst_unused:UNUSED_PAD src0_sel:DWORD src1_sel:WORD_1
	v_fma_f16 v19, v70, v36, v19
	s_waitcnt vmcnt(2)
	v_mul_f16_sdwa v70, v72, v37 dst_sel:DWORD dst_unused:UNUSED_PAD src0_sel:DWORD src1_sel:WORD_1
	v_fma_f16 v70, v20, v37, -v70
	v_mul_f16_sdwa v20, v20, v37 dst_sel:DWORD dst_unused:UNUSED_PAD src0_sel:DWORD src1_sel:WORD_1
	v_fma_f16 v20, v72, v37, v20
	;; [unrolled: 5-line block ×4, first 2 shown]
	v_sub_f16_e32 v76, v9, v77
	v_fma_f16 v9, v9, 2.0, -v76
	v_fma_f16 v77, v40, 2.0, -v11
	v_pack_b32_f16 v9, v9, v77
	v_pack_b32_f16 v11, v76, v11
	ds_write2_b32 v127, v9, v11 offset1:17
	v_mul_lo_u16_e32 v9, 34, v41
	v_and_b32_e32 v9, 0xfe, v9
	v_add_lshl_u32 v130, v9, v42, 2
	v_pack_b32_f16 v9, v10, v79
	v_pack_b32_f16 v10, v78, v12
	ds_write2_b32 v130, v9, v10 offset1:17
	v_mul_u32_u24_e32 v9, 34, v43
	v_sub_f16_e32 v65, v14, v65
	v_sub_f16_e32 v16, v66, v16
	v_add_lshl_u32 v131, v9, v44, 2
	v_pack_b32_f16 v9, v13, v64
	v_pack_b32_f16 v10, v63, v15
	v_fma_f16 v14, v14, 2.0, -v65
	v_fma_f16 v66, v66, 2.0, -v16
	ds_write2_b32 v131, v9, v10 offset1:17
	v_mul_u32_u24_e32 v9, 34, v45
	v_sub_f16_e32 v68, v17, v68
	v_sub_f16_e32 v19, v69, v19
	v_add_lshl_u32 v132, v9, v46, 2
	v_pack_b32_f16 v9, v14, v66
	v_pack_b32_f16 v10, v65, v16
	v_fma_f16 v17, v17, 2.0, -v68
	v_fma_f16 v69, v69, 2.0, -v19
	;; [unrolled: 9-line block ×3, first 2 shown]
	ds_write2_b32 v133, v9, v10 offset1:17
	v_mad_legacy_u16 v9, v56, 34, v57
	v_sub_f16_e32 v72, v21, v72
	v_sub_f16_e32 v23, v73, v23
	v_lshlrev_b32_e32 v134, 2, v9
	v_pack_b32_f16 v9, v18, v71
	v_pack_b32_f16 v10, v70, v20
	v_fma_f16 v21, v21, 2.0, -v72
	v_fma_f16 v73, v73, 2.0, -v23
	ds_write2_b32 v134, v9, v10 offset1:17
	v_mad_legacy_u16 v9, v58, 34, v59
	v_sub_f16_e32 v54, v22, v74
	v_sub_f16_e32 v55, v75, v24
	v_lshlrev_b32_e32 v135, 2, v9
	v_pack_b32_f16 v9, v21, v73
	v_pack_b32_f16 v10, v72, v23
	v_fma_f16 v22, v22, 2.0, -v54
	v_fma_f16 v24, v75, 2.0, -v55
	ds_write2_b32 v135, v9, v10 offset1:17
	v_mad_legacy_u16 v9, v60, 34, v61
	v_lshlrev_b32_e32 v136, 2, v9
	v_pack_b32_f16 v9, v22, v24
	v_pack_b32_f16 v10, v54, v55
	ds_write2_b32 v136, v9, v10 offset1:17
	v_add_u32_e32 v9, 0x200, v31
	s_waitcnt lgkmcnt(0)
	; wave barrier
	s_waitcnt lgkmcnt(0)
	ds_read2_b32 v[18:19], v31 offset1:51
	ds_read2_b32 v[14:15], v9 offset0:76 offset1:144
	ds_read2_b32 v[24:25], v67 offset0:32 offset1:83
	;; [unrolled: 1-line block ×6, first 2 shown]
	ds_read_b32 v53, v31 offset:2992
                                        ; implicit-def: $vgpr56
                                        ; implicit-def: $vgpr57
	s_and_saveexec_b64 s[2:3], s[0:1]
	s_cbranch_execz .LBB0_9
; %bb.8:
	ds_read_b32 v54, v31 offset:1020
	ds_read_b32 v28, v31 offset:2108
	;; [unrolled: 1-line block ×3, first 2 shown]
	s_waitcnt lgkmcnt(2)
	v_lshrrev_b32_e32 v55, 16, v54
	s_waitcnt lgkmcnt(1)
	v_lshrrev_b32_e32 v29, 16, v28
	;; [unrolled: 2-line block ×3, first 2 shown]
.LBB0_9:
	s_or_b64 exec, exec, s[2:3]
	s_movk_i32 s2, 0xffde
	v_add_co_u32_e64 v9, s[2:3], s2, v0
	v_addc_co_u32_e64 v10, s[2:3], 0, -1, s[2:3]
	v_cmp_gt_u16_e64 s[2:3], 34, v0
	v_cndmask_b32_e64 v59, v10, 0, s[2:3]
	v_cndmask_b32_e64 v58, v9, v0, s[2:3]
	v_lshrrev_b16_e32 v60, 13, v8
	v_lshrrev_b16_e32 v62, 13, v7
	;; [unrolled: 1-line block ×3, first 2 shown]
	v_lshlrev_b64 v[9:10], 3, v[58:59]
	v_mul_lo_u16_e32 v8, 34, v60
	v_mul_lo_u16_e32 v7, 34, v62
	;; [unrolled: 1-line block ×3, first 2 shown]
	v_sub_u16_e32 v5, v5, v8
	v_sub_u16_e32 v4, v4, v7
	;; [unrolled: 1-line block ×3, first 2 shown]
	v_mov_b32_e32 v59, s15
	v_add_co_u32_e64 v9, s[2:3], s14, v9
	v_and_b32_e32 v61, 0xff, v5
	v_and_b32_e32 v63, 0xff, v4
	;; [unrolled: 1-line block ×3, first 2 shown]
	v_addc_co_u32_e64 v10, s[2:3], v59, v10, s[2:3]
	v_lshlrev_b32_e32 v5, 3, v61
	v_lshlrev_b32_e32 v7, 3, v63
	;; [unrolled: 1-line block ×3, first 2 shown]
	v_lshrrev_b16_e32 v66, 13, v3
	global_load_dwordx2 v[8:9], v[9:10], off offset:68
	s_waitcnt lgkmcnt(1)
	v_lshrrev_b32_e32 v77, 16, v20
	global_load_dwordx2 v[4:5], v5, s[14:15] offset:68
	v_lshrrev_b32_e32 v78, 16, v23
	global_load_dwordx2 v[10:11], v7, s[14:15] offset:68
	;; [unrolled: 2-line block ×3, first 2 shown]
	v_mul_lo_u16_e32 v2, 34, v66
	v_sub_u16_e32 v2, v48, v2
	v_and_b32_e32 v67, 0xff, v2
	v_lshlrev_b32_e32 v2, 3, v67
	global_load_dwordx2 v[12:13], v2, s[14:15] offset:68
	v_lshrrev_b32_e32 v2, 21, v52
	v_mul_lo_u16_e32 v2, 34, v2
	v_sub_u16_e32 v68, v49, v2
	v_lshlrev_b16_e32 v2, 3, v68
	v_add_co_u32_e64 v2, s[2:3], s14, v2
	v_addc_co_u32_e64 v3, s[2:3], 0, v59, s[2:3]
	global_load_dwordx2 v[2:3], v[2:3], off offset:68
	v_lshrrev_b32_e32 v59, 16, v15
	v_lshrrev_b32_e32 v80, 16, v21
	;; [unrolled: 1-line block ×3, first 2 shown]
	s_waitcnt lgkmcnt(0)
	v_lshrrev_b32_e32 v81, 16, v53
	v_lshrrev_b32_e32 v75, 16, v22
	;; [unrolled: 1-line block ×4, first 2 shown]
	s_movk_i32 s2, 0x3aee
	s_mov_b32 s3, 0xbaee
	v_lshrrev_b32_e32 v70, 16, v19
	v_lshrrev_b32_e32 v74, 16, v27
	;; [unrolled: 1-line block ×5, first 2 shown]
	s_waitcnt lgkmcnt(0)
	; wave barrier
	v_lshlrev_b32_e32 v145, 2, v68
	s_waitcnt vmcnt(5)
	v_mul_f16_sdwa v82, v59, v8 dst_sel:DWORD dst_unused:UNUSED_PAD src0_sel:DWORD src1_sel:WORD_1
	v_mul_f16_sdwa v83, v15, v8 dst_sel:DWORD dst_unused:UNUSED_PAD src0_sel:DWORD src1_sel:WORD_1
	v_fma_f16 v82, v15, v8, -v82
	v_mul_f16_sdwa v85, v24, v9 dst_sel:DWORD dst_unused:UNUSED_PAD src0_sel:DWORD src1_sel:WORD_1
	v_mul_f16_sdwa v84, v69, v9 dst_sel:DWORD dst_unused:UNUSED_PAD src0_sel:DWORD src1_sel:WORD_1
	v_fma_f16 v69, v69, v9, v85
	s_waitcnt vmcnt(2)
	v_mul_f16_sdwa v15, v20, v6 dst_sel:DWORD dst_unused:UNUSED_PAD src0_sel:DWORD src1_sel:WORD_1
	v_mul_f16_sdwa v94, v77, v6 dst_sel:DWORD dst_unused:UNUSED_PAD src0_sel:DWORD src1_sel:WORD_1
	v_fma_f16 v77, v77, v6, v15
	v_mul_f16_sdwa v15, v78, v7 dst_sel:DWORD dst_unused:UNUSED_PAD src0_sel:DWORD src1_sel:WORD_1
	v_fma_f16 v85, v23, v7, -v15
	v_mul_f16_sdwa v15, v23, v7 dst_sel:DWORD dst_unused:UNUSED_PAD src0_sel:DWORD src1_sel:WORD_1
	v_fma_f16 v23, v78, v7, v15
	s_waitcnt vmcnt(1)
	v_mul_f16_sdwa v15, v80, v12 dst_sel:DWORD dst_unused:UNUSED_PAD src0_sel:DWORD src1_sel:WORD_1
	v_fma_f16 v78, v21, v12, -v15
	v_mul_f16_sdwa v15, v21, v12 dst_sel:DWORD dst_unused:UNUSED_PAD src0_sel:DWORD src1_sel:WORD_1
	v_mul_f16_sdwa v86, v71, v4 dst_sel:DWORD dst_unused:UNUSED_PAD src0_sel:DWORD src1_sel:WORD_1
	v_fma_f16 v80, v80, v12, v15
	v_mul_f16_sdwa v15, v81, v13 dst_sel:DWORD dst_unused:UNUSED_PAD src0_sel:DWORD src1_sel:WORD_1
	v_mul_f16_sdwa v87, v26, v4 dst_sel:DWORD dst_unused:UNUSED_PAD src0_sel:DWORD src1_sel:WORD_1
	;; [unrolled: 1-line block ×3, first 2 shown]
	v_fma_f16 v24, v24, v9, -v84
	v_fma_f16 v26, v26, v4, -v86
	;; [unrolled: 1-line block ×4, first 2 shown]
	v_mul_f16_sdwa v15, v53, v13 dst_sel:DWORD dst_unused:UNUSED_PAD src0_sel:DWORD src1_sel:WORD_1
	s_waitcnt vmcnt(0)
	v_mul_f16_sdwa v20, v28, v2 dst_sel:DWORD dst_unused:UNUSED_PAD src0_sel:DWORD src1_sel:WORD_1
	v_mul_f16_sdwa v93, v22, v11 dst_sel:DWORD dst_unused:UNUSED_PAD src0_sel:DWORD src1_sel:WORD_1
	v_fma_f16 v59, v59, v8, v83
	v_fma_f16 v83, v22, v11, -v92
	v_fma_f16 v53, v81, v13, v15
	v_mul_f16_sdwa v15, v29, v2 dst_sel:DWORD dst_unused:UNUSED_PAD src0_sel:DWORD src1_sel:WORD_1
	v_fma_f16 v21, v29, v2, v20
	v_mul_f16_sdwa v22, v56, v3 dst_sel:DWORD dst_unused:UNUSED_PAD src0_sel:DWORD src1_sel:WORD_1
	v_add_f16_e32 v29, v82, v24
	v_fma_f16 v15, v28, v2, -v15
	v_mul_f16_sdwa v20, v57, v3 dst_sel:DWORD dst_unused:UNUSED_PAD src0_sel:DWORD src1_sel:WORD_1
	v_fma_f16 v22, v57, v3, v22
	v_add_f16_e32 v28, v18, v82
	v_fma_f16 v18, v29, -0.5, v18
	v_sub_f16_e32 v29, v59, v69
	v_add_f16_e32 v57, v59, v69
	v_mul_f16_sdwa v88, v72, v5 dst_sel:DWORD dst_unused:UNUSED_PAD src0_sel:DWORD src1_sel:WORD_1
	v_fma_f16 v20, v56, v3, -v20
	v_add_f16_e32 v28, v28, v24
	v_fma_f16 v56, v29, s2, v18
	v_fma_f16 v18, v29, s3, v18
	v_add_f16_e32 v29, v52, v59
	v_fma_f16 v52, v57, -0.5, v52
	v_sub_f16_e32 v24, v82, v24
	v_mul_f16_sdwa v89, v25, v5 dst_sel:DWORD dst_unused:UNUSED_PAD src0_sel:DWORD src1_sel:WORD_1
	v_fma_f16 v25, v25, v5, -v88
	v_fma_f16 v59, v24, s3, v52
	v_fma_f16 v24, v24, s2, v52
	v_add_f16_e32 v52, v19, v26
	v_fma_f16 v71, v71, v4, v87
	v_fma_f16 v72, v72, v5, v89
	v_add_f16_e32 v29, v29, v69
	v_add_f16_e32 v69, v52, v25
	;; [unrolled: 1-line block ×3, first 2 shown]
	v_fma_f16 v19, v52, -0.5, v19
	v_sub_f16_e32 v52, v71, v72
	v_fma_f16 v81, v52, s2, v19
	v_fma_f16 v19, v52, s3, v19
	v_add_f16_e32 v52, v70, v71
	v_mul_f16_sdwa v90, v74, v10 dst_sel:DWORD dst_unused:UNUSED_PAD src0_sel:DWORD src1_sel:WORD_1
	v_add_f16_e32 v82, v52, v72
	v_add_f16_e32 v52, v71, v72
	v_mul_f16_sdwa v91, v27, v10 dst_sel:DWORD dst_unused:UNUSED_PAD src0_sel:DWORD src1_sel:WORD_1
	v_fma_f16 v27, v27, v10, -v90
	v_fma_f16 v52, v52, -0.5, v70
	v_sub_f16_e32 v25, v26, v25
	v_fma_f16 v26, v25, s3, v52
	v_fma_f16 v25, v25, s2, v52
	v_add_f16_e32 v52, v16, v27
	v_fma_f16 v74, v74, v10, v91
	v_fma_f16 v75, v75, v11, v93
	v_add_f16_e32 v70, v52, v83
	v_add_f16_e32 v52, v27, v83
	v_fma_f16 v16, v52, -0.5, v16
	v_sub_f16_e32 v52, v74, v75
	v_fma_f16 v71, v52, s2, v16
	v_fma_f16 v16, v52, s3, v16
	v_add_f16_e32 v52, v73, v74
	v_add_f16_e32 v72, v52, v75
	v_add_f16_e32 v52, v74, v75
	v_fma_f16 v52, v52, -0.5, v73
	v_sub_f16_e32 v27, v27, v83
	v_fma_f16 v73, v27, s3, v52
	v_fma_f16 v27, v27, s2, v52
	v_add_f16_e32 v52, v17, v84
	;; [unrolled: 7-line block ×6, first 2 shown]
	v_fma_f16 v52, v52, -0.5, v54
	v_sub_f16_e32 v53, v21, v22
	v_fma_f16 v79, v53, s2, v52
	v_fma_f16 v52, v53, s3, v52
	v_add_f16_e32 v53, v21, v22
	v_fma_f16 v53, v53, -0.5, v55
	v_sub_f16_e32 v57, v15, v20
	v_fma_f16 v78, v57, s3, v53
	v_fma_f16 v53, v57, s2, v53
	v_mov_b32_e32 v57, 0x66
	v_cmp_lt_u16_e64 s[2:3], 33, v0
	v_cndmask_b32_e64 v57, 0, v57, s[2:3]
	v_add_lshl_u32 v57, v58, v57, 2
	v_pack_b32_f16 v18, v18, v24
	ds_write_b32 v57, v18 offset:272
	v_mul_u32_u24_e32 v18, 0x66, v60
	v_pack_b32_f16 v28, v28, v29
	v_pack_b32_f16 v29, v56, v59
	v_add_lshl_u32 v58, v18, v61, 2
	v_pack_b32_f16 v18, v69, v82
	v_pack_b32_f16 v24, v81, v26
	ds_write2_b32 v57, v28, v29 offset1:34
	ds_write2_b32 v58, v18, v24 offset1:34
	v_pack_b32_f16 v18, v19, v25
	ds_write_b32 v58, v18 offset:272
	v_mul_u32_u24_e32 v18, 0x66, v62
	v_add_lshl_u32 v59, v18, v63, 2
	v_pack_b32_f16 v16, v16, v27
	v_pack_b32_f16 v18, v70, v72
	;; [unrolled: 1-line block ×3, first 2 shown]
	ds_write_b32 v59, v16 offset:272
	v_mul_u32_u24_e32 v16, 0x66, v64
	ds_write2_b32 v59, v18, v19 offset1:34
	v_add_lshl_u32 v61, v16, v65, 2
	v_pack_b32_f16 v16, v74, v83
	v_pack_b32_f16 v18, v75, v76
	ds_write2_b32 v61, v16, v18 offset1:34
	v_pack_b32_f16 v16, v17, v23
	ds_write_b32 v61, v16 offset:272
	v_mul_u32_u24_e32 v16, 0x66, v66
	v_add_lshl_u32 v62, v16, v67, 2
	v_pack_b32_f16 v16, v77, v85
	v_pack_b32_f16 v17, v84, v80
	;; [unrolled: 1-line block ×3, first 2 shown]
	ds_write2_b32 v62, v16, v17 offset1:34
	ds_write_b32 v62, v14 offset:272
	s_and_saveexec_b64 s[2:3], s[0:1]
	s_cbranch_execz .LBB0_11
; %bb.10:
	v_add_f16_e32 v14, v55, v21
	v_add_f16_e32 v15, v54, v15
	;; [unrolled: 1-line block ×4, first 2 shown]
	s_mov_b32 s4, 0x5040100
	v_pack_b32_f16 v14, v15, v14
	v_perm_b32 v15, v78, v79, s4
	v_add_u32_e32 v16, 0x800, v145
	ds_write2_b32 v16, v14, v15 offset0:202 offset1:236
	v_perm_b32 v14, v53, v52, s4
	ds_write_b32 v145, v14 offset:3128
.LBB0_11:
	s_or_b64 exec, exec, s[2:3]
	s_movk_i32 s2, 0xa1
	v_mul_lo_u16_sdwa v14, v48, s2 dst_sel:DWORD dst_unused:UNUSED_PAD src0_sel:BYTE_0 src1_sel:DWORD
	v_lshrrev_b16_e32 v14, 14, v14
	v_mul_lo_u16_e32 v14, 0x66, v14
	v_sub_u16_e32 v14, v48, v14
	v_mov_b32_e32 v15, 2
	v_lshlrev_b32_sdwa v141, v15, v14 dst_sel:DWORD dst_unused:UNUSED_PAD src0_sel:DWORD src1_sel:BYTE_0
	v_mul_u32_u24_e32 v14, 0xa0a1, v49
	v_lshrrev_b32_e32 v14, 22, v14
	v_mul_lo_u16_e32 v14, 0x66, v14
	v_sub_u16_e32 v14, v49, v14
	v_lshlrev_b32_e32 v142, 2, v14
	v_mul_u32_u24_e32 v14, 0xa0a1, v50
	v_lshrrev_b32_e32 v14, 22, v14
	s_waitcnt lgkmcnt(0)
	; wave barrier
	s_waitcnt lgkmcnt(0)
	global_load_dword v54, v30, s[14:15] offset:340
	global_load_dword v55, v30, s[14:15] offset:544
	v_mul_lo_u16_e32 v14, 0x66, v14
	v_sub_u16_e32 v14, v50, v14
	v_lshlrev_b32_e32 v143, 2, v14
	v_mul_u32_u24_e32 v14, 0xa0a1, v51
	v_lshrrev_b32_e32 v14, 22, v14
	v_mul_lo_u16_e32 v14, 0x66, v14
	v_sub_u16_e32 v14, v51, v14
	global_load_dword v64, v141, s[14:15] offset:340
	global_load_dword v63, v142, s[14:15] offset:340
	;; [unrolled: 1-line block ×3, first 2 shown]
	v_lshlrev_b32_e32 v144, 2, v14
	global_load_dword v65, v144, s[14:15] offset:340
	ds_read2_b32 v[14:15], v31 offset1:51
	v_add_u32_e32 v96, 0x400, v31
	ds_read2_b32 v[16:17], v31 offset0:102 offset1:153
	v_add_u32_e32 v97, 0x600, v31
	ds_read2_b32 v[18:19], v31 offset0:204 offset1:255
	;; [unrolled: 2-line block ×3, first 2 shown]
	ds_read2_b32 v[22:23], v97 offset0:126 offset1:177
	ds_read2_b32 v[24:25], v98 offset0:100 offset1:151
	;; [unrolled: 1-line block ×4, first 2 shown]
	s_waitcnt lgkmcnt(4)
	v_lshrrev_b32_e32 v72, 16, v20
	v_lshrrev_b32_e32 v73, 16, v21
	;; [unrolled: 1-line block ×4, first 2 shown]
	s_waitcnt lgkmcnt(3)
	v_lshrrev_b32_e32 v74, 16, v22
	v_lshrrev_b32_e32 v75, 16, v23
	v_lshrrev_b32_e32 v68, 16, v16
	v_lshrrev_b32_e32 v69, 16, v17
	s_waitcnt lgkmcnt(2)
	v_lshrrev_b32_e32 v76, 16, v24
	v_lshrrev_b32_e32 v77, 16, v25
	;; [unrolled: 1-line block ×3, first 2 shown]
	s_waitcnt lgkmcnt(0)
	v_lshrrev_b32_e32 v81, 16, v28
	s_waitcnt lgkmcnt(0)
	; wave barrier
	v_lshrrev_b32_e32 v71, 16, v19
	v_lshrrev_b32_e32 v83, 16, v29
	;; [unrolled: 1-line block ×4, first 2 shown]
	s_waitcnt vmcnt(5)
	v_mul_f16_sdwa v84, v72, v54 dst_sel:DWORD dst_unused:UNUSED_PAD src0_sel:DWORD src1_sel:WORD_1
	v_mul_f16_sdwa v85, v20, v54 dst_sel:DWORD dst_unused:UNUSED_PAD src0_sel:DWORD src1_sel:WORD_1
	s_waitcnt vmcnt(4)
	v_mul_f16_sdwa v86, v73, v55 dst_sel:DWORD dst_unused:UNUSED_PAD src0_sel:DWORD src1_sel:WORD_1
	v_mul_f16_sdwa v87, v21, v55 dst_sel:DWORD dst_unused:UNUSED_PAD src0_sel:DWORD src1_sel:WORD_1
	v_fma_f16 v20, v20, v54, -v84
	v_fma_f16 v72, v72, v54, v85
	v_fma_f16 v21, v21, v55, -v86
	v_fma_f16 v73, v73, v55, v87
	v_mul_f16_sdwa v88, v74, v54 dst_sel:DWORD dst_unused:UNUSED_PAD src0_sel:DWORD src1_sel:WORD_1
	v_mul_f16_sdwa v89, v22, v54 dst_sel:DWORD dst_unused:UNUSED_PAD src0_sel:DWORD src1_sel:WORD_1
	;; [unrolled: 1-line block ×4, first 2 shown]
	v_sub_f16_e32 v20, v14, v20
	v_sub_f16_e32 v72, v66, v72
	;; [unrolled: 1-line block ×4, first 2 shown]
	v_fma_f16 v22, v22, v54, -v88
	v_fma_f16 v74, v74, v54, v89
	v_fma_f16 v23, v23, v55, -v90
	v_fma_f16 v75, v75, v55, v91
	v_fma_f16 v14, v14, 2.0, -v20
	v_fma_f16 v66, v66, 2.0, -v72
	;; [unrolled: 1-line block ×4, first 2 shown]
	s_waitcnt vmcnt(3)
	v_mul_f16_sdwa v84, v76, v64 dst_sel:DWORD dst_unused:UNUSED_PAD src0_sel:DWORD src1_sel:WORD_1
	v_mul_f16_sdwa v85, v24, v64 dst_sel:DWORD dst_unused:UNUSED_PAD src0_sel:DWORD src1_sel:WORD_1
	v_sub_f16_e32 v22, v16, v22
	v_sub_f16_e32 v74, v68, v74
	;; [unrolled: 1-line block ×4, first 2 shown]
	v_pack_b32_f16 v14, v14, v66
	v_pack_b32_f16 v15, v15, v67
	s_waitcnt vmcnt(2)
	v_mul_f16_sdwa v86, v77, v63 dst_sel:DWORD dst_unused:UNUSED_PAD src0_sel:DWORD src1_sel:WORD_1
	v_mul_f16_sdwa v87, v25, v63 dst_sel:DWORD dst_unused:UNUSED_PAD src0_sel:DWORD src1_sel:WORD_1
	v_fma_f16 v24, v24, v64, -v84
	v_fma_f16 v76, v76, v64, v85
	v_fma_f16 v16, v16, 2.0, -v22
	v_fma_f16 v68, v68, 2.0, -v74
	;; [unrolled: 1-line block ×4, first 2 shown]
	v_pack_b32_f16 v20, v20, v72
	ds_write2_b32 v31, v14, v15 offset1:51
	v_pack_b32_f16 v14, v21, v73
	s_waitcnt vmcnt(1)
	v_mul_f16_sdwa v88, v81, v60 dst_sel:DWORD dst_unused:UNUSED_PAD src0_sel:DWORD src1_sel:WORD_1
	v_mul_f16_sdwa v89, v28, v60 dst_sel:DWORD dst_unused:UNUSED_PAD src0_sel:DWORD src1_sel:WORD_1
	v_fma_f16 v25, v25, v63, -v86
	v_fma_f16 v77, v77, v63, v87
	v_sub_f16_e32 v24, v18, v24
	v_sub_f16_e32 v76, v70, v76
	ds_write2_b32 v31, v20, v14 offset0:102 offset1:153
	v_pack_b32_f16 v14, v16, v68
	v_pack_b32_f16 v16, v17, v69
	s_waitcnt vmcnt(0)
	v_mul_f16_sdwa v90, v83, v65 dst_sel:DWORD dst_unused:UNUSED_PAD src0_sel:DWORD src1_sel:WORD_1
	v_mul_f16_sdwa v91, v29, v65 dst_sel:DWORD dst_unused:UNUSED_PAD src0_sel:DWORD src1_sel:WORD_1
	v_fma_f16 v28, v28, v60, -v88
	v_fma_f16 v81, v81, v60, v89
	v_fma_f16 v18, v18, 2.0, -v24
	v_fma_f16 v70, v70, 2.0, -v76
	v_sub_f16_e32 v25, v19, v25
	v_sub_f16_e32 v77, v71, v77
	v_pack_b32_f16 v15, v22, v74
	ds_write2_b32 v31, v14, v16 offset0:204 offset1:255
	v_pack_b32_f16 v14, v23, v75
	v_fma_f16 v29, v29, v65, -v90
	v_fma_f16 v83, v83, v65, v91
	v_fma_f16 v19, v19, 2.0, -v25
	v_fma_f16 v71, v71, 2.0, -v77
	v_sub_f16_e32 v28, v26, v28
	v_sub_f16_e32 v81, v80, v81
	ds_write2_b32 v96, v15, v14 offset0:50 offset1:101
	v_pack_b32_f16 v14, v18, v70
	v_pack_b32_f16 v15, v24, v76
	v_add_u32_e32 v16, 0x400, v141
	v_fma_f16 v26, v26, 2.0, -v28
	v_fma_f16 v80, v80, 2.0, -v81
	v_sub_f16_e32 v29, v27, v29
	v_sub_f16_e32 v83, v82, v83
	ds_write2_b32 v16, v14, v15 offset0:152 offset1:254
	v_pack_b32_f16 v14, v19, v71
	v_pack_b32_f16 v15, v25, v77
	v_add_u32_e32 v16, 0x400, v142
	v_fma_f16 v27, v27, 2.0, -v29
	v_fma_f16 v82, v82, 2.0, -v83
	ds_write2_b32 v16, v14, v15 offset0:152 offset1:254
	v_pack_b32_f16 v14, v26, v80
	v_pack_b32_f16 v15, v28, v81
	v_add_u32_e32 v16, 0x800, v143
	ds_write2_b32 v16, v14, v15 offset0:100 offset1:202
	v_pack_b32_f16 v14, v27, v82
	v_pack_b32_f16 v15, v29, v83
	v_add_u32_e32 v16, 0x800, v144
	ds_write2_b32 v16, v14, v15 offset0:100 offset1:202
	s_waitcnt lgkmcnt(0)
	; wave barrier
	s_waitcnt lgkmcnt(0)
	global_load_dword v66, v30, s[14:15] offset:748
	global_load_dword v67, v30, s[14:15] offset:952
	;; [unrolled: 1-line block ×4, first 2 shown]
	ds_read2_b32 v[14:15], v31 offset1:51
	ds_read2_b32 v[16:17], v96 offset0:152 offset1:203
	ds_read2_b32 v[20:21], v97 offset0:126 offset1:177
	;; [unrolled: 1-line block ×5, first 2 shown]
	s_waitcnt lgkmcnt(4)
	v_lshrrev_b32_e32 v71, 16, v16
	v_lshrrev_b32_e32 v73, 16, v17
	s_waitcnt lgkmcnt(3)
	v_lshrrev_b32_e32 v75, 16, v20
	v_lshrrev_b32_e32 v77, 16, v21
	ds_read2_b32 v[26:27], v96 offset0:50 offset1:101
	ds_read2_b32 v[28:29], v98 offset0:202 offset1:253
	s_waitcnt lgkmcnt(4)
	v_lshrrev_b32_e32 v81, 16, v24
	v_lshrrev_b32_e32 v83, 16, v25
	;; [unrolled: 1-line block ×4, first 2 shown]
	s_waitcnt lgkmcnt(0)
	v_lshrrev_b32_e32 v85, 16, v28
	v_lshrrev_b32_e32 v87, 16, v29
	;; [unrolled: 1-line block ×6, first 2 shown]
	s_waitcnt lgkmcnt(0)
	; wave barrier
	v_lshrrev_b32_e32 v84, 16, v26
	v_lshrrev_b32_e32 v86, 16, v27
	s_waitcnt vmcnt(3)
	v_mul_f16_sdwa v88, v71, v66 dst_sel:DWORD dst_unused:UNUSED_PAD src0_sel:DWORD src1_sel:WORD_1
	v_fma_f16 v88, v16, v66, -v88
	v_mul_f16_sdwa v16, v16, v66 dst_sel:DWORD dst_unused:UNUSED_PAD src0_sel:DWORD src1_sel:WORD_1
	v_fma_f16 v16, v71, v66, v16
	s_waitcnt vmcnt(2)
	v_mul_f16_sdwa v71, v73, v67 dst_sel:DWORD dst_unused:UNUSED_PAD src0_sel:DWORD src1_sel:WORD_1
	v_fma_f16 v71, v17, v67, -v71
	v_mul_f16_sdwa v17, v17, v67 dst_sel:DWORD dst_unused:UNUSED_PAD src0_sel:DWORD src1_sel:WORD_1
	v_fma_f16 v17, v73, v67, v17
	;; [unrolled: 5-line block ×4, first 2 shown]
	v_mul_f16_sdwa v77, v81, v66 dst_sel:DWORD dst_unused:UNUSED_PAD src0_sel:DWORD src1_sel:WORD_1
	v_fma_f16 v77, v24, v66, -v77
	v_mul_f16_sdwa v24, v24, v66 dst_sel:DWORD dst_unused:UNUSED_PAD src0_sel:DWORD src1_sel:WORD_1
	v_fma_f16 v24, v81, v66, v24
	v_mul_f16_sdwa v81, v83, v67 dst_sel:DWORD dst_unused:UNUSED_PAD src0_sel:DWORD src1_sel:WORD_1
	v_fma_f16 v81, v25, v67, -v81
	v_mul_f16_sdwa v25, v25, v67 dst_sel:DWORD dst_unused:UNUSED_PAD src0_sel:DWORD src1_sel:WORD_1
	v_fma_f16 v25, v83, v67, v25
	v_mul_f16_sdwa v83, v85, v68 dst_sel:DWORD dst_unused:UNUSED_PAD src0_sel:DWORD src1_sel:WORD_1
	v_fma_f16 v83, v28, v68, -v83
	v_mul_f16_sdwa v28, v28, v68 dst_sel:DWORD dst_unused:UNUSED_PAD src0_sel:DWORD src1_sel:WORD_1
	v_fma_f16 v28, v85, v68, v28
	v_mul_f16_sdwa v85, v87, v69 dst_sel:DWORD dst_unused:UNUSED_PAD src0_sel:DWORD src1_sel:WORD_1
	v_fma_f16 v85, v29, v69, -v85
	v_mul_f16_sdwa v29, v29, v69 dst_sel:DWORD dst_unused:UNUSED_PAD src0_sel:DWORD src1_sel:WORD_1
	v_fma_f16 v29, v87, v69, v29
	v_sub_f16_e32 v87, v14, v88
	v_sub_f16_e32 v16, v70, v16
	v_sub_f16_e32 v71, v15, v71
	v_sub_f16_e32 v17, v72, v17
	v_fma_f16 v14, v14, 2.0, -v87
	v_fma_f16 v70, v70, 2.0, -v16
	;; [unrolled: 1-line block ×4, first 2 shown]
	v_sub_f16_e32 v73, v18, v73
	v_sub_f16_e32 v20, v74, v20
	;; [unrolled: 1-line block ×4, first 2 shown]
	v_pack_b32_f16 v14, v14, v70
	v_pack_b32_f16 v15, v15, v72
	v_fma_f16 v18, v18, 2.0, -v73
	v_fma_f16 v74, v74, 2.0, -v20
	;; [unrolled: 1-line block ×4, first 2 shown]
	v_pack_b32_f16 v16, v87, v16
	ds_write2_b32 v31, v14, v15 offset1:51
	v_pack_b32_f16 v14, v71, v17
	v_sub_f16_e32 v77, v22, v77
	v_sub_f16_e32 v24, v80, v24
	;; [unrolled: 1-line block ×4, first 2 shown]
	ds_write2_b32 v31, v16, v14 offset0:204 offset1:255
	v_pack_b32_f16 v14, v18, v74
	v_pack_b32_f16 v16, v19, v76
	v_fma_f16 v22, v22, 2.0, -v77
	v_fma_f16 v80, v80, 2.0, -v24
	;; [unrolled: 1-line block ×4, first 2 shown]
	v_pack_b32_f16 v15, v73, v20
	ds_write2_b32 v31, v14, v16 offset0:102 offset1:153
	v_pack_b32_f16 v14, v75, v21
	v_sub_f16_e32 v83, v26, v83
	v_sub_f16_e32 v28, v84, v28
	;; [unrolled: 1-line block ×4, first 2 shown]
	ds_write2_b32 v96, v15, v14 offset0:50 offset1:101
	v_pack_b32_f16 v14, v22, v80
	v_pack_b32_f16 v16, v23, v82
	v_fma_f16 v26, v26, 2.0, -v83
	v_fma_f16 v84, v84, 2.0, -v28
	;; [unrolled: 1-line block ×4, first 2 shown]
	v_pack_b32_f16 v15, v77, v24
	ds_write2_b32 v96, v14, v16 offset0:152 offset1:203
	v_pack_b32_f16 v14, v81, v25
	ds_write2_b32 v98, v15, v14 offset0:100 offset1:151
	v_pack_b32_f16 v14, v26, v84
	v_pack_b32_f16 v16, v27, v86
	;; [unrolled: 1-line block ×3, first 2 shown]
	ds_write2_b32 v97, v14, v16 offset0:126 offset1:177
	v_pack_b32_f16 v14, v85, v29
	ds_write2_b32 v98, v15, v14 offset0:202 offset1:253
	s_waitcnt lgkmcnt(0)
	; wave barrier
	s_waitcnt lgkmcnt(0)
	global_load_dword v70, v30, s[14:15] offset:1564
	global_load_dword v71, v30, s[14:15] offset:1768
	;; [unrolled: 1-line block ×8, first 2 shown]
	ds_read2_b32 v[17:18], v31 offset1:51
	ds_read2_b32 v[14:15], v96 offset0:152 offset1:203
	ds_read2_b32 v[19:20], v97 offset0:126 offset1:177
	;; [unrolled: 1-line block ×5, first 2 shown]
	s_waitcnt lgkmcnt(4)
	v_lshrrev_b32_e32 v29, 16, v14
	v_lshrrev_b32_e32 v80, 16, v15
	s_waitcnt lgkmcnt(3)
	v_lshrrev_b32_e32 v81, 16, v19
	v_lshrrev_b32_e32 v83, 16, v20
	ds_read2_b32 v[94:95], v96 offset0:50 offset1:101
	ds_read2_b32 v[27:28], v98 offset0:202 offset1:253
	s_waitcnt lgkmcnt(4)
	v_lshrrev_b32_e32 v84, 16, v23
	v_lshrrev_b32_e32 v86, 16, v24
	;; [unrolled: 1-line block ×4, first 2 shown]
	s_waitcnt lgkmcnt(0)
	v_lshrrev_b32_e32 v88, 16, v27
	v_lshrrev_b32_e32 v91, 16, v28
	;; [unrolled: 1-line block ×8, first 2 shown]
	s_waitcnt vmcnt(7)
	v_mul_f16_sdwa v92, v29, v70 dst_sel:DWORD dst_unused:UNUSED_PAD src0_sel:DWORD src1_sel:WORD_1
	v_fma_f16 v92, v14, v70, -v92
	v_mul_f16_sdwa v14, v14, v70 dst_sel:DWORD dst_unused:UNUSED_PAD src0_sel:DWORD src1_sel:WORD_1
	v_fma_f16 v14, v29, v70, v14
	s_waitcnt vmcnt(6)
	v_mul_f16_sdwa v29, v80, v71 dst_sel:DWORD dst_unused:UNUSED_PAD src0_sel:DWORD src1_sel:WORD_1
	v_fma_f16 v29, v15, v71, -v29
	v_mul_f16_sdwa v15, v15, v71 dst_sel:DWORD dst_unused:UNUSED_PAD src0_sel:DWORD src1_sel:WORD_1
	v_fma_f16 v100, v80, v71, v15
	;; [unrolled: 5-line block ×8, first 2 shown]
	v_sub_f16_e32 v15, v17, v92
	v_sub_f16_e32 v80, v16, v14
	v_fma_f16 v14, v17, 2.0, -v15
	v_sub_f16_e32 v17, v18, v29
	v_sub_f16_e32 v19, v21, v101
	v_fma_f16 v81, v16, 2.0, -v80
	v_fma_f16 v16, v18, 2.0, -v17
	;; [unrolled: 1-line block ×3, first 2 shown]
	v_sub_f16_e32 v21, v22, v103
	v_sub_f16_e32 v23, v25, v104
	;; [unrolled: 1-line block ×4, first 2 shown]
	v_fma_f16 v20, v22, 2.0, -v21
	v_fma_f16 v22, v25, 2.0, -v23
	v_sub_f16_e32 v25, v26, v106
	v_sub_f16_e32 v27, v94, v107
	v_fma_f16 v82, v82, 2.0, -v83
	v_sub_f16_e32 v91, v90, v24
	v_fma_f16 v24, v26, 2.0, -v25
	v_fma_f16 v26, v94, 2.0, -v27
	v_sub_f16_e32 v29, v95, v109
	v_sub_f16_e32 v94, v99, v28
	;; [unrolled: 1-line block ×3, first 2 shown]
	v_fma_f16 v28, v95, 2.0, -v29
	v_fma_f16 v95, v99, 2.0, -v94
	v_pack_b32_f16 v99, v14, v81
	v_pack_b32_f16 v101, v16, v82
	v_fma_f16 v85, v85, 2.0, -v84
	v_fma_f16 v87, v87, 2.0, -v86
	v_pack_b32_f16 v100, v15, v80
	ds_write2_b32 v31, v99, v101 offset1:51
	v_pack_b32_f16 v99, v17, v83
	v_sub_f16_e32 v88, v89, v105
	ds_write2_b32 v96, v100, v99 offset0:152 offset1:203
	v_pack_b32_f16 v99, v18, v85
	v_pack_b32_f16 v101, v20, v87
	v_fma_f16 v89, v89, 2.0, -v88
	v_fma_f16 v90, v90, 2.0, -v91
	v_pack_b32_f16 v100, v19, v84
	ds_write2_b32 v31, v99, v101 offset0:102 offset1:153
	v_pack_b32_f16 v99, v21, v86
	v_sub_f16_e32 v92, v93, v108
	ds_write2_b32 v97, v100, v99 offset0:126 offset1:177
	v_pack_b32_f16 v97, v22, v89
	v_pack_b32_f16 v100, v24, v90
	v_fma_f16 v93, v93, 2.0, -v92
	v_pack_b32_f16 v99, v23, v88
	ds_write2_b32 v31, v97, v100 offset0:204 offset1:255
	v_pack_b32_f16 v97, v25, v91
	ds_write2_b32 v98, v99, v97 offset0:100 offset1:151
	v_pack_b32_f16 v97, v26, v93
	v_pack_b32_f16 v100, v28, v95
	;; [unrolled: 1-line block ×3, first 2 shown]
	ds_write2_b32 v96, v97, v100 offset0:50 offset1:101
	v_pack_b32_f16 v96, v29, v94
	ds_write2_b32 v98, v99, v96 offset0:202 offset1:253
	s_waitcnt lgkmcnt(0)
	; wave barrier
	s_waitcnt lgkmcnt(0)
	s_and_saveexec_b64 s[2:3], vcc
	s_cbranch_execz .LBB0_13
; %bb.12:
	global_load_dword v98, v30, s[6:7] offset:3264
	ds_read_b32 v96, v31
	s_add_u32 s4, s6, 0xcc0
	s_addc_u32 s5, s7, 0
	s_waitcnt lgkmcnt(0)
	v_lshrrev_b32_e32 v97, 16, v96
	s_waitcnt vmcnt(0)
	v_mul_f16_sdwa v99, v97, v98 dst_sel:DWORD dst_unused:UNUSED_PAD src0_sel:DWORD src1_sel:WORD_1
	v_fma_f16 v99, v96, v98, -v99
	v_mul_f16_sdwa v96, v96, v98 dst_sel:DWORD dst_unused:UNUSED_PAD src0_sel:DWORD src1_sel:WORD_1
	v_fma_f16 v96, v97, v98, v96
	v_pack_b32_f16 v96, v99, v96
	global_load_dword v99, v30, s[4:5] offset:192
	ds_write_b32 v31, v96
	ds_read2_b32 v[96:97], v30 offset0:48 offset1:96
	s_waitcnt lgkmcnt(0)
	v_lshrrev_b32_e32 v98, 16, v96
	s_waitcnt vmcnt(0)
	v_mul_f16_sdwa v100, v98, v99 dst_sel:DWORD dst_unused:UNUSED_PAD src0_sel:DWORD src1_sel:WORD_1
	v_fma_f16 v100, v96, v99, -v100
	v_mul_f16_sdwa v96, v96, v99 dst_sel:DWORD dst_unused:UNUSED_PAD src0_sel:DWORD src1_sel:WORD_1
	v_fma_f16 v96, v98, v99, v96
	global_load_dword v99, v30, s[4:5] offset:384
	v_lshrrev_b32_e32 v98, 16, v97
	v_pack_b32_f16 v96, v100, v96
	s_waitcnt vmcnt(0)
	v_mul_f16_sdwa v100, v98, v99 dst_sel:DWORD dst_unused:UNUSED_PAD src0_sel:DWORD src1_sel:WORD_1
	v_fma_f16 v100, v97, v99, -v100
	v_mul_f16_sdwa v97, v97, v99 dst_sel:DWORD dst_unused:UNUSED_PAD src0_sel:DWORD src1_sel:WORD_1
	v_fma_f16 v97, v98, v99, v97
	global_load_dword v99, v30, s[4:5] offset:576
	v_pack_b32_f16 v97, v100, v97
	ds_write2_b32 v30, v96, v97 offset0:48 offset1:96
	ds_read2_b32 v[96:97], v30 offset0:144 offset1:192
	s_waitcnt lgkmcnt(0)
	v_lshrrev_b32_e32 v98, 16, v96
	s_waitcnt vmcnt(0)
	v_mul_f16_sdwa v100, v98, v99 dst_sel:DWORD dst_unused:UNUSED_PAD src0_sel:DWORD src1_sel:WORD_1
	v_fma_f16 v100, v96, v99, -v100
	v_mul_f16_sdwa v96, v96, v99 dst_sel:DWORD dst_unused:UNUSED_PAD src0_sel:DWORD src1_sel:WORD_1
	v_fma_f16 v96, v98, v99, v96
	global_load_dword v99, v30, s[4:5] offset:768
	v_lshrrev_b32_e32 v98, 16, v97
	v_pack_b32_f16 v96, v100, v96
	s_waitcnt vmcnt(0)
	v_mul_f16_sdwa v100, v98, v99 dst_sel:DWORD dst_unused:UNUSED_PAD src0_sel:DWORD src1_sel:WORD_1
	v_fma_f16 v100, v97, v99, -v100
	v_mul_f16_sdwa v97, v97, v99 dst_sel:DWORD dst_unused:UNUSED_PAD src0_sel:DWORD src1_sel:WORD_1
	v_fma_f16 v97, v98, v99, v97
	v_pack_b32_f16 v97, v100, v97
	global_load_dword v100, v30, s[4:5] offset:960
	v_add_u32_e32 v98, 0x200, v30
	ds_write2_b32 v30, v96, v97 offset0:144 offset1:192
	ds_read2_b32 v[96:97], v98 offset0:112 offset1:160
	s_waitcnt lgkmcnt(0)
	v_lshrrev_b32_e32 v99, 16, v96
	s_waitcnt vmcnt(0)
	v_mul_f16_sdwa v101, v99, v100 dst_sel:DWORD dst_unused:UNUSED_PAD src0_sel:DWORD src1_sel:WORD_1
	v_fma_f16 v101, v96, v100, -v101
	v_mul_f16_sdwa v96, v96, v100 dst_sel:DWORD dst_unused:UNUSED_PAD src0_sel:DWORD src1_sel:WORD_1
	v_fma_f16 v96, v99, v100, v96
	global_load_dword v100, v30, s[4:5] offset:1152
	v_lshrrev_b32_e32 v99, 16, v97
	v_pack_b32_f16 v96, v101, v96
	s_waitcnt vmcnt(0)
	v_mul_f16_sdwa v101, v99, v100 dst_sel:DWORD dst_unused:UNUSED_PAD src0_sel:DWORD src1_sel:WORD_1
	v_fma_f16 v101, v97, v100, -v101
	v_mul_f16_sdwa v97, v97, v100 dst_sel:DWORD dst_unused:UNUSED_PAD src0_sel:DWORD src1_sel:WORD_1
	v_fma_f16 v97, v99, v100, v97
	global_load_dword v100, v30, s[4:5] offset:1344
	v_pack_b32_f16 v97, v101, v97
	ds_write2_b32 v98, v96, v97 offset0:112 offset1:160
	v_add_u32_e32 v98, 0x400, v30
	ds_read2_b32 v[96:97], v98 offset0:80 offset1:128
	s_waitcnt lgkmcnt(0)
	v_lshrrev_b32_e32 v99, 16, v96
	s_waitcnt vmcnt(0)
	v_mul_f16_sdwa v101, v99, v100 dst_sel:DWORD dst_unused:UNUSED_PAD src0_sel:DWORD src1_sel:WORD_1
	v_fma_f16 v101, v96, v100, -v101
	v_mul_f16_sdwa v96, v96, v100 dst_sel:DWORD dst_unused:UNUSED_PAD src0_sel:DWORD src1_sel:WORD_1
	v_fma_f16 v96, v99, v100, v96
	global_load_dword v100, v30, s[4:5] offset:1536
	v_lshrrev_b32_e32 v99, 16, v97
	v_pack_b32_f16 v96, v101, v96
	s_waitcnt vmcnt(0)
	v_mul_f16_sdwa v101, v99, v100 dst_sel:DWORD dst_unused:UNUSED_PAD src0_sel:DWORD src1_sel:WORD_1
	v_fma_f16 v101, v97, v100, -v101
	v_mul_f16_sdwa v97, v97, v100 dst_sel:DWORD dst_unused:UNUSED_PAD src0_sel:DWORD src1_sel:WORD_1
	v_fma_f16 v97, v99, v100, v97
	global_load_dword v100, v30, s[4:5] offset:1728
	v_pack_b32_f16 v97, v101, v97
	ds_write2_b32 v98, v96, v97 offset0:80 offset1:128
	ds_read2_b32 v[96:97], v98 offset0:176 offset1:224
	s_waitcnt lgkmcnt(0)
	v_lshrrev_b32_e32 v99, 16, v96
	s_waitcnt vmcnt(0)
	v_mul_f16_sdwa v101, v99, v100 dst_sel:DWORD dst_unused:UNUSED_PAD src0_sel:DWORD src1_sel:WORD_1
	v_fma_f16 v101, v96, v100, -v101
	v_mul_f16_sdwa v96, v96, v100 dst_sel:DWORD dst_unused:UNUSED_PAD src0_sel:DWORD src1_sel:WORD_1
	v_fma_f16 v96, v99, v100, v96
	global_load_dword v100, v30, s[4:5] offset:1920
	v_lshrrev_b32_e32 v99, 16, v97
	v_pack_b32_f16 v96, v101, v96
	s_waitcnt vmcnt(0)
	v_mul_f16_sdwa v101, v99, v100 dst_sel:DWORD dst_unused:UNUSED_PAD src0_sel:DWORD src1_sel:WORD_1
	v_fma_f16 v101, v97, v100, -v101
	v_mul_f16_sdwa v97, v97, v100 dst_sel:DWORD dst_unused:UNUSED_PAD src0_sel:DWORD src1_sel:WORD_1
	v_fma_f16 v97, v99, v100, v97
	global_load_dword v100, v30, s[4:5] offset:2112
	v_pack_b32_f16 v97, v101, v97
	ds_write2_b32 v98, v96, v97 offset0:176 offset1:224
	v_add_u32_e32 v98, 0x800, v30
	ds_read2_b32 v[96:97], v98 offset0:16 offset1:64
	s_waitcnt lgkmcnt(0)
	v_lshrrev_b32_e32 v99, 16, v96
	s_waitcnt vmcnt(0)
	v_mul_f16_sdwa v101, v99, v100 dst_sel:DWORD dst_unused:UNUSED_PAD src0_sel:DWORD src1_sel:WORD_1
	v_fma_f16 v101, v96, v100, -v101
	v_mul_f16_sdwa v96, v96, v100 dst_sel:DWORD dst_unused:UNUSED_PAD src0_sel:DWORD src1_sel:WORD_1
	v_fma_f16 v96, v99, v100, v96
	global_load_dword v100, v30, s[4:5] offset:2304
	v_lshrrev_b32_e32 v99, 16, v97
	v_pack_b32_f16 v96, v101, v96
	s_waitcnt vmcnt(0)
	v_mul_f16_sdwa v101, v99, v100 dst_sel:DWORD dst_unused:UNUSED_PAD src0_sel:DWORD src1_sel:WORD_1
	v_fma_f16 v101, v97, v100, -v101
	v_mul_f16_sdwa v97, v97, v100 dst_sel:DWORD dst_unused:UNUSED_PAD src0_sel:DWORD src1_sel:WORD_1
	v_fma_f16 v97, v99, v100, v97
	global_load_dword v100, v30, s[4:5] offset:2496
	v_pack_b32_f16 v97, v101, v97
	ds_write2_b32 v98, v96, v97 offset0:16 offset1:64
	ds_read2_b32 v[96:97], v98 offset0:112 offset1:160
	s_waitcnt lgkmcnt(0)
	v_lshrrev_b32_e32 v99, 16, v96
	s_waitcnt vmcnt(0)
	v_mul_f16_sdwa v101, v99, v100 dst_sel:DWORD dst_unused:UNUSED_PAD src0_sel:DWORD src1_sel:WORD_1
	v_fma_f16 v101, v96, v100, -v101
	v_mul_f16_sdwa v96, v96, v100 dst_sel:DWORD dst_unused:UNUSED_PAD src0_sel:DWORD src1_sel:WORD_1
	v_fma_f16 v96, v99, v100, v96
	global_load_dword v100, v30, s[4:5] offset:2688
	v_lshrrev_b32_e32 v99, 16, v97
	v_pack_b32_f16 v96, v101, v96
	s_waitcnt vmcnt(0)
	v_mul_f16_sdwa v101, v99, v100 dst_sel:DWORD dst_unused:UNUSED_PAD src0_sel:DWORD src1_sel:WORD_1
	v_fma_f16 v101, v97, v100, -v101
	v_mul_f16_sdwa v97, v97, v100 dst_sel:DWORD dst_unused:UNUSED_PAD src0_sel:DWORD src1_sel:WORD_1
	v_fma_f16 v97, v99, v100, v97
	global_load_dword v100, v30, s[4:5] offset:2880
	v_pack_b32_f16 v97, v101, v97
	ds_write2_b32 v98, v96, v97 offset0:112 offset1:160
	v_add_u32_e32 v98, 0xa00, v30
	ds_read2_b32 v[96:97], v98 offset0:80 offset1:128
	s_waitcnt lgkmcnt(0)
	v_lshrrev_b32_e32 v99, 16, v96
	s_waitcnt vmcnt(0)
	v_mul_f16_sdwa v101, v99, v100 dst_sel:DWORD dst_unused:UNUSED_PAD src0_sel:DWORD src1_sel:WORD_1
	v_fma_f16 v101, v96, v100, -v101
	v_mul_f16_sdwa v96, v96, v100 dst_sel:DWORD dst_unused:UNUSED_PAD src0_sel:DWORD src1_sel:WORD_1
	v_fma_f16 v96, v99, v100, v96
	global_load_dword v100, v30, s[4:5] offset:3072
	v_lshrrev_b32_e32 v99, 16, v97
	v_pack_b32_f16 v96, v101, v96
	s_waitcnt vmcnt(0)
	v_mul_f16_sdwa v101, v99, v100 dst_sel:DWORD dst_unused:UNUSED_PAD src0_sel:DWORD src1_sel:WORD_1
	v_fma_f16 v101, v97, v100, -v101
	v_mul_f16_sdwa v97, v97, v100 dst_sel:DWORD dst_unused:UNUSED_PAD src0_sel:DWORD src1_sel:WORD_1
	v_fma_f16 v97, v99, v100, v97
	v_pack_b32_f16 v97, v101, v97
	ds_write2_b32 v98, v96, v97 offset0:80 offset1:128
.LBB0_13:
	s_or_b64 exec, exec, s[2:3]
	s_waitcnt lgkmcnt(0)
	; wave barrier
	s_waitcnt lgkmcnt(0)
	s_and_saveexec_b64 s[2:3], vcc
	s_cbranch_execz .LBB0_15
; %bb.14:
	v_add_u32_e32 v22, 0x400, v31
	v_add_u32_e32 v24, 0x600, v31
	;; [unrolled: 1-line block ×3, first 2 shown]
	ds_read2_b32 v[14:15], v31 offset1:48
	ds_read2_b32 v[16:17], v31 offset0:96 offset1:144
	ds_read2_b32 v[18:19], v31 offset0:192 offset1:240
	ds_read2_b32 v[20:21], v22 offset0:32 offset1:80
	ds_read2_b32 v[22:23], v22 offset0:128 offset1:176
	ds_read2_b32 v[24:25], v24 offset0:96 offset1:144
	ds_read2_b32 v[26:27], v28 offset0:64 offset1:112
	ds_read2_b32 v[28:29], v28 offset0:160 offset1:208
	ds_read_b32 v79, v31 offset:3072
	s_waitcnt lgkmcnt(8)
	v_lshrrev_b32_e32 v81, 16, v14
	v_lshrrev_b32_e32 v80, 16, v15
	s_waitcnt lgkmcnt(7)
	v_lshrrev_b32_e32 v82, 16, v16
	v_lshrrev_b32_e32 v83, 16, v17
	;; [unrolled: 3-line block ×8, first 2 shown]
	s_waitcnt lgkmcnt(0)
	v_lshrrev_b32_e32 v78, 16, v79
.LBB0_15:
	s_or_b64 exec, exec, s[2:3]
	v_sub_f16_e32 v167, v80, v78
	v_add_f16_e32 v102, v79, v15
	v_add_f16_e32 v108, v78, v80
	s_movk_i32 s4, 0x3b76
	v_mul_f16_e32 v98, 0xb5c8, v167
	v_sub_f16_e32 v168, v82, v94
	v_sub_f16_e32 v170, v15, v79
	s_mov_b32 s2, 0xb5c8
	v_mul_f16_e32 v100, 0x3b76, v108
	v_fma_f16 v96, v102, s4, -v98
	v_add_f16_e32 v105, v29, v16
	v_add_f16_e32 v112, v94, v82
	s_movk_i32 s5, 0x39e9
	v_mul_f16_e32 v99, 0xb964, v168
	v_add_f16_e32 v96, v14, v96
	v_fma_f16 v97, v170, s2, v100
	v_sub_f16_e32 v172, v16, v29
	s_mov_b32 s2, 0xb964
	v_mul_f16_e32 v103, 0x39e9, v112
	v_fma_f16 v101, v105, s5, -v99
	v_add_f16_e32 v97, v81, v97
	v_add_f16_e32 v96, v101, v96
	v_fma_f16 v101, v172, s2, v103
	v_sub_f16_e32 v169, v83, v95
	v_add_f16_e32 v97, v101, v97
	v_add_f16_e32 v109, v28, v17
	;; [unrolled: 1-line block ×3, first 2 shown]
	s_movk_i32 s14, 0x3722
	v_mul_f16_e32 v101, 0xbb29, v169
	v_sub_f16_e32 v174, v17, v28
	s_mov_b32 s2, 0xbb29
	v_mul_f16_e32 v106, 0x3722, v116
	v_fma_f16 v104, v109, s14, -v101
	v_add_f16_e32 v96, v104, v96
	v_fma_f16 v104, v174, s2, v106
	v_sub_f16_e32 v171, v85, v92
	v_add_f16_e32 v97, v104, v97
	v_add_f16_e32 v113, v27, v18
	;; [unrolled: 1-line block ×3, first 2 shown]
	s_movk_i32 s15, 0x2de8
	v_mul_f16_e32 v104, 0xbbf7, v171
	v_sub_f16_e32 v176, v18, v27
	s_mov_b32 s2, 0xbbf7
	v_mul_f16_e32 v110, 0x2de8, v121
	v_fma_f16 v107, v113, s15, -v104
	v_add_f16_e32 v96, v107, v96
	v_fma_f16 v107, v176, s2, v110
	v_sub_f16_e32 v173, v84, v93
	v_add_f16_e32 v97, v107, v97
	v_add_f16_e32 v117, v26, v19
	;; [unrolled: 1-line block ×3, first 2 shown]
	s_mov_b32 s16, 0xb461
	v_mul_f16_e32 v107, 0xbbb2, v173
	v_sub_f16_e32 v178, v19, v26
	s_mov_b32 s2, 0xbbb2
	v_mul_f16_e32 v114, 0xb461, v124
	v_fma_f16 v111, v117, s16, -v107
	v_add_f16_e32 v96, v111, v96
	v_fma_f16 v111, v178, s2, v114
	v_sub_f16_e32 v175, v87, v91
	v_add_f16_e32 v97, v111, v97
	v_add_f16_e32 v122, v25, v20
	;; [unrolled: 1-line block ×3, first 2 shown]
	v_mul_f16_e32 v111, 0xba62, v175
	v_sub_f16_e32 v180, v20, v25
	s_mov_b32 s2, 0xba62
	v_mul_f16_e32 v118, 0xb8d2, v128
	v_fma_f16 v115, v122, s17, -v111
	v_add_f16_e32 v96, v115, v96
	v_fma_f16 v115, v180, s2, v118
	v_sub_f16_e32 v177, v86, v90
	v_add_f16_e32 v97, v115, v97
	v_add_f16_e32 v125, v24, v21
	;; [unrolled: 1-line block ×3, first 2 shown]
	s_mov_b32 s18, 0xbacd
	v_mul_f16_e32 v115, 0xb836, v177
	v_sub_f16_e32 v181, v21, v24
	s_mov_b32 s2, 0xb836
	v_mul_f16_e32 v123, 0xbacd, v138
	v_fma_f16 v119, v125, s18, -v115
	v_sub_f16_e32 v179, v89, v88
	v_add_f16_e32 v96, v119, v96
	v_fma_f16 v119, v181, s2, v123
	v_add_f16_e32 v129, v23, v22
	v_add_f16_e32 v139, v88, v89
	s_mov_b32 s19, 0xbbdd
	v_mul_f16_e32 v120, 0xb1e1, v179
	v_add_f16_e32 v97, v119, v97
	v_sub_f16_e32 v182, v22, v23
	s_mov_b32 s2, 0xb1e1
	v_mul_f16_e32 v126, 0xbbdd, v139
	v_fma_f16 v119, v129, s19, -v120
	v_add_f16_e32 v96, v119, v96
	v_fma_f16 v119, v182, s2, v126
	v_add_f16_e32 v97, v119, v97
	s_waitcnt lgkmcnt(0)
	; wave barrier
	s_and_saveexec_b64 s[2:3], vcc
	s_cbranch_execz .LBB0_17
; %bb.16:
	v_mul_f16_e32 v40, 0x3b76, v102
	buffer_store_dword v40, off, s[36:39], 0 offset:12 ; 4-byte Folded Spill
	v_mul_f16_e32 v40, 0x39e9, v105
	buffer_store_dword v40, off, s[36:39], 0 offset:16 ; 4-byte Folded Spill
	v_mul_f16_e32 v40, 0xb964, v172
	buffer_store_dword v40, off, s[36:39], 0 offset:44 ; 4-byte Folded Spill
	v_mul_f16_e32 v40, 0x3722, v109
	buffer_store_dword v40, off, s[36:39], 0 offset:20 ; 4-byte Folded Spill
	v_mul_f16_e32 v40, 0xbb29, v174
	buffer_store_dword v40, off, s[36:39], 0 offset:48 ; 4-byte Folded Spill
	v_mul_f16_e32 v40, 0x2de8, v113
	v_mul_f16_e32 v150, 0xb964, v170
	buffer_store_dword v40, off, s[36:39], 0 offset:24 ; 4-byte Folded Spill
	v_mul_f16_e32 v40, 0xbbf7, v176
	v_fma_f16 v119, v108, s5, v150
	v_mul_f16_e32 v151, 0xbbf7, v172
	buffer_store_dword v40, off, s[36:39], 0 offset:52 ; 4-byte Folded Spill
	v_mul_f16_e32 v40, 0xb461, v117
	v_add_f16_e32 v119, v81, v119
	buffer_store_dword v127, off, s[36:39], 0 ; 4-byte Folded Spill
	v_fma_f16 v127, v112, s15, v151
	v_mul_f16_e32 v152, 0xba62, v174
	buffer_store_dword v40, off, s[36:39], 0 offset:28 ; 4-byte Folded Spill
	v_mul_f16_e32 v40, 0xbbb2, v178
	v_add_f16_e32 v119, v127, v119
	v_fma_f16 v127, v116, s17, v152
	v_mul_f16_e32 v153, 0xb1e1, v176
	buffer_store_dword v40, off, s[36:39], 0 offset:56 ; 4-byte Folded Spill
	v_mul_f16_e32 v40, 0xb8d2, v122
	v_add_f16_e32 v119, v127, v119
	;; [unrolled: 5-line block ×6, first 2 shown]
	v_fma_f16 v127, v139, s4, v158
	v_mul_f16_e32 v159, 0xb964, v167
	buffer_store_dword v40, off, s[36:39], 0 offset:40 ; 4-byte Folded Spill
	v_add_f16_e32 v40, v127, v119
	v_fma_f16 v127, v102, s5, -v159
	v_mul_f16_e32 v160, 0xbbf7, v168
	v_add_f16_e32 v127, v14, v127
	v_fma_f16 v140, v105, s15, -v160
	v_mul_f16_e32 v161, 0xba62, v169
	v_add_f16_e32 v127, v140, v127
	v_fma_f16 v140, v109, s17, -v161
	v_mul_f16_e32 v162, 0xb1e1, v171
	v_add_f16_e32 v127, v140, v127
	v_fma_f16 v140, v113, s19, -v162
	v_mul_f16_e32 v163, 0x3836, v173
	v_add_f16_e32 v127, v140, v127
	v_fma_f16 v140, v117, s18, -v163
	v_mul_f16_e32 v164, 0x3bb2, v175
	v_add_f16_e32 v127, v140, v127
	v_fma_f16 v140, v122, s16, -v164
	v_mul_f16_e32 v165, 0x3b29, v177
	v_add_f16_e32 v127, v140, v127
	v_fma_f16 v140, v125, s14, -v165
	v_mul_f16_e32 v166, 0x35c8, v179
	v_add_f16_e32 v127, v140, v127
	v_fma_f16 v140, v129, s4, -v166
	v_mul_f16_e32 v183, 0xbb29, v170
	buffer_store_dword v40, off, s[36:39], 0 offset:4 ; 4-byte Folded Spill
	v_add_f16_e32 v40, v140, v127
	v_fma_f16 v140, v108, s14, v183
	v_mul_f16_e32 v184, 0xba62, v172
	v_add_f16_e32 v140, v81, v140
	v_fma_f16 v149, v112, s17, v184
	v_mul_f16_e32 v185, 0x31e1, v174
	;; [unrolled: 3-line block ×8, first 2 shown]
	v_add_f16_e32 v140, v149, v140
	v_fma_f16 v149, v102, s14, -v191
	v_mul_f16_e32 v192, 0xba62, v168
	v_add_f16_e32 v149, v14, v149
	v_fma_f16 v154, v105, s17, -v192
	v_mul_f16_e32 v193, 0x31e1, v169
	;; [unrolled: 3-line block ×8, first 2 shown]
	v_add_f16_e32 v149, v154, v149
	v_fma_f16 v154, v108, s15, v199
	v_mul_f16_e32 v200, 0xb1e1, v172
	v_add_f16_e32 v154, v81, v154
	v_fma_f16 v201, v112, s19, v200
	v_add_f16_e32 v154, v201, v154
	v_mul_f16_e32 v201, 0x3bb2, v174
	v_fma_f16 v202, v116, s16, v201
	v_add_f16_e32 v154, v202, v154
	v_mul_f16_e32 v202, 0x35c8, v176
	v_fma_f16 v203, v121, s4, v202
	v_add_f16_e32 v154, v203, v154
	v_mul_f16_e32 v203, 0xbb29, v178
	v_fma_f16 v204, v124, s14, v203
	v_add_f16_e32 v154, v204, v154
	v_mul_f16_e32 v204, 0xb836, v180
	v_fma_f16 v205, v128, s18, v204
	v_add_f16_e32 v154, v205, v154
	v_mul_f16_e32 v205, 0x3a62, v181
	v_fma_f16 v206, v138, s17, v205
	v_add_f16_e32 v154, v206, v154
	v_mul_f16_e32 v206, 0x3964, v182
	v_fma_f16 v207, v139, s5, v206
	v_add_f16_e32 v154, v207, v154
	v_mul_f16_e32 v207, 0xbbf7, v167
	v_fma_f16 v208, v102, s15, -v207
	v_mul_f16_e32 v209, 0xb1e1, v168
	v_add_f16_e32 v208, v14, v208
	v_fma_f16 v210, v105, s19, -v209
	v_add_f16_e32 v208, v210, v208
	v_mul_f16_e32 v210, 0x3bb2, v169
	v_fma_f16 v211, v109, s16, -v210
	v_add_f16_e32 v208, v211, v208
	v_mul_f16_e32 v211, 0x35c8, v171
	v_fma_f16 v212, v113, s4, -v211
	v_add_f16_e32 v208, v212, v208
	v_mul_f16_e32 v212, 0xbb29, v173
	v_fma_f16 v213, v117, s14, -v212
	v_add_f16_e32 v208, v213, v208
	v_mul_f16_e32 v213, 0xb836, v175
	v_fma_f16 v214, v122, s18, -v213
	v_add_f16_e32 v208, v214, v208
	v_mul_f16_e32 v214, 0x3a62, v177
	v_fma_f16 v215, v125, s17, -v214
	v_add_f16_e32 v208, v215, v208
	v_mul_f16_e32 v215, 0x3964, v179
	v_fma_f16 v216, v129, s5, -v215
	v_add_f16_e32 v208, v216, v208
	v_mul_f16_e32 v216, 0xbbb2, v170
	v_fma_f16 v217, v108, s16, v216
	v_mul_f16_e32 v218, 0x3836, v172
	v_add_f16_e32 v217, v81, v217
	v_fma_f16 v219, v112, s18, v218
	v_add_f16_e32 v217, v219, v217
	v_mul_f16_e32 v219, 0x3964, v174
	v_fma_f16 v220, v116, s5, v219
	v_add_f16_e32 v217, v220, v217
	v_mul_f16_e32 v220, 0xbb29, v176
	v_fma_f16 v221, v121, s14, v220
	v_add_f16_e32 v217, v221, v217
	v_mul_f16_e32 v221, 0xb1e1, v178
	v_fma_f16 v222, v124, s19, v221
	v_add_f16_e32 v217, v222, v217
	v_mul_f16_e32 v222, 0x3bf7, v180
	v_fma_f16 v223, v128, s15, v222
	v_add_f16_e32 v217, v223, v217
	v_mul_f16_e32 v223, 0xb5c8, v181
	v_fma_f16 v224, v138, s4, v223
	v_add_f16_e32 v217, v224, v217
	v_mul_f16_e32 v224, 0xba62, v182
	v_fma_f16 v225, v139, s17, v224
	v_add_f16_e32 v217, v225, v217
	v_mul_f16_e32 v225, 0xbbb2, v167
	v_fma_f16 v226, v102, s16, -v225
	v_mul_f16_e32 v227, 0x3836, v168
	v_add_f16_e32 v226, v14, v226
	v_fma_f16 v228, v105, s18, -v227
	v_add_f16_e32 v226, v228, v226
	v_mul_f16_e32 v228, 0x3964, v169
	v_fma_f16 v229, v109, s5, -v228
	v_add_f16_e32 v226, v229, v226
	v_mul_f16_e32 v229, 0xbb29, v171
	v_fma_f16 v230, v113, s14, -v229
	v_add_f16_e32 v226, v230, v226
	v_mul_f16_e32 v230, 0xb1e1, v173
	v_fma_f16 v231, v117, s19, -v230
	v_add_f16_e32 v226, v231, v226
	v_mul_f16_e32 v231, 0x3bf7, v175
	v_fma_f16 v232, v122, s15, -v231
	v_add_f16_e32 v226, v232, v226
	v_mul_f16_e32 v232, 0xb5c8, v177
	v_fma_f16 v233, v125, s4, -v232
	v_add_f16_e32 v226, v233, v226
	v_mul_f16_e32 v233, 0xba62, v179
	v_fma_f16 v234, v129, s17, -v233
	v_add_f16_e32 v226, v234, v226
	v_mul_f16_e32 v234, 0xba62, v170
	;; [unrolled: 48-line block ×3, first 2 shown]
	v_fma_f16 v253, v108, s18, v252
	v_mul_f16_e32 v254, 0x3b29, v172
	v_add_f16_e32 v253, v81, v253
	v_fma_f16 v255, v112, s14, v254
	v_add_f16_e32 v253, v255, v253
	v_mul_f16_e32 v255, 0xbbf7, v174
	buffer_store_dword v40, off, s[36:39], 0 offset:8 ; 4-byte Folded Spill
	v_fma_f16 v40, v116, s15, v255
	v_add_f16_e32 v40, v40, v253
	v_mul_f16_e32 v253, 0x3a62, v176
	v_fma_f16 v41, v121, s17, v253
	v_add_f16_e32 v40, v41, v40
	v_mul_f16_e32 v41, 0xb5c8, v178
	v_fma_f16 v42, v124, s4, v41
	v_add_f16_e32 v40, v42, v40
	v_mul_f16_e32 v42, 0xb1e1, v180
	v_fma_f16 v43, v128, s19, v42
	v_add_f16_e32 v40, v43, v40
	v_mul_f16_e32 v43, 0x3964, v181
	v_fma_f16 v44, v138, s5, v43
	v_add_f16_e32 v40, v44, v40
	v_mul_f16_e32 v44, 0xbbb2, v182
	v_fma_f16 v45, v139, s16, v44
	v_add_f16_e32 v40, v45, v40
	v_mul_f16_e32 v45, 0xb836, v167
	v_fma_f16 v46, v102, s18, -v45
	v_mul_f16_e32 v47, 0x3b29, v168
	v_add_f16_e32 v46, v14, v46
	v_fma_f16 v56, v105, s14, -v47
	v_add_f16_e32 v46, v56, v46
	v_mul_f16_e32 v56, 0xbbf7, v169
	v_fma_f16 v119, v109, s15, -v56
	v_add_f16_e32 v46, v119, v46
	v_mul_f16_e32 v119, 0x3a62, v171
	;; [unrolled: 3-line block ×3, first 2 shown]
	v_mov_b32_e32 v48, v130
	v_fma_f16 v130, v117, s4, -v127
	v_add_f16_e32 v46, v130, v46
	v_mul_f16_e32 v130, 0xb1e1, v175
	v_mov_b32_e32 v1, v136
	v_mov_b32_e32 v136, v131
	v_fma_f16 v131, v122, s19, -v130
	v_add_f16_e32 v46, v131, v46
	v_mul_f16_e32 v131, 0x3964, v177
	v_mov_b32_e32 v137, v132
	v_fma_f16 v132, v125, s5, -v131
	v_add_f16_e32 v46, v132, v46
	v_mul_f16_e32 v132, 0xbbb2, v179
	;; [unrolled: 4-line block ×3, first 2 shown]
	v_mul_f16_e32 v147, 0xb5c8, v170
	v_fma_f16 v170, v108, s19, v133
	v_mul_f16_e32 v172, 0x35c8, v172
	v_add_f16_e32 v170, v81, v170
	v_mov_b32_e32 v50, v134
	v_fma_f16 v134, v112, s4, v172
	v_add_f16_e32 v134, v134, v170
	v_mul_f16_e32 v170, 0xb836, v174
	v_fma_f16 v174, v116, s18, v170
	v_add_f16_e32 v134, v174, v134
	v_mul_f16_e32 v174, 0x3964, v176
	;; [unrolled: 3-line block ×6, first 2 shown]
	v_mul_f16_e32 v148, 0xb1e1, v182
	v_fma_f16 v182, v139, s15, v181
	v_mul_f16_e32 v167, 0xb1e1, v167
	v_add_f16_e32 v134, v182, v134
	v_fma_f16 v182, v102, s19, -v167
	v_mul_f16_e32 v168, 0x35c8, v168
	v_fma_f16 v167, v102, s19, v167
	v_mov_b32_e32 v51, v135
	v_fma_f16 v135, v105, s4, -v168
	v_mul_f16_e32 v169, 0xb836, v169
	v_add_f16_e32 v167, v14, v167
	v_fma_f16 v168, v105, s4, v168
	v_mul_f16_e32 v171, 0x3964, v171
	v_add_f16_e32 v167, v168, v167
	v_fma_f16 v168, v109, s18, v169
	;; [unrolled: 3-line block ×6, first 2 shown]
	v_add_f16_e32 v167, v168, v167
	v_fma_f16 v168, v129, s15, v179
	v_add_f16_e32 v182, v14, v182
	v_add_f16_e32 v167, v168, v167
	v_fma_f16 v168, v108, s18, -v252
	v_add_f16_e32 v135, v135, v182
	v_fma_f16 v182, v109, s18, -v169
	v_add_f16_e32 v168, v81, v168
	v_fma_f16 v169, v112, s14, -v254
	v_add_f16_e32 v168, v169, v168
	v_fma_f16 v169, v116, s15, -v255
	v_add_f16_e32 v168, v169, v168
	v_fma_f16 v169, v121, s17, -v253
	v_add_f16_e32 v168, v169, v168
	v_fma_f16 v41, v124, s4, -v41
	v_add_f16_e32 v41, v41, v168
	v_fma_f16 v42, v128, s19, -v42
	v_add_f16_e32 v41, v42, v41
	v_fma_f16 v42, v138, s5, -v43
	v_add_f16_e32 v41, v42, v41
	v_fma_f16 v42, v139, s16, -v44
	v_add_f16_e32 v41, v42, v41
	v_fma_f16 v42, v102, s18, v45
	v_add_f16_e32 v42, v14, v42
	v_fma_f16 v43, v105, s14, v47
	v_add_f16_e32 v42, v43, v42
	v_fma_f16 v43, v109, s15, v56
	v_add_f16_e32 v42, v43, v42
	v_fma_f16 v43, v113, s17, v119
	v_add_f16_e32 v42, v43, v42
	v_fma_f16 v43, v117, s4, v127
	v_add_f16_e32 v42, v43, v42
	v_fma_f16 v43, v122, s19, v130
	v_add_f16_e32 v42, v43, v42
	v_fma_f16 v43, v125, s5, v131
	v_add_f16_e32 v42, v43, v42
	v_fma_f16 v43, v129, s16, v132
	v_add_f16_e32 v42, v43, v42
	v_fma_f16 v43, v108, s17, -v234
	v_add_f16_e32 v43, v81, v43
	v_fma_f16 v44, v112, s16, -v236
	v_add_f16_e32 v43, v44, v43
	v_fma_f16 v44, v116, s4, -v237
	v_add_f16_e32 v43, v44, v43
	v_fma_f16 v44, v121, s18, -v238
	v_add_f16_e32 v43, v44, v43
	v_fma_f16 v44, v124, s15, -v239
	v_add_f16_e32 v43, v44, v43
	v_fma_f16 v44, v128, s5, -v240
	v_add_f16_e32 v43, v44, v43
	v_fma_f16 v44, v138, s19, -v241
	v_add_f16_e32 v43, v44, v43
	v_fma_f16 v44, v139, s14, -v242
	v_add_f16_e32 v43, v44, v43
	v_fma_f16 v44, v102, s17, v243
	v_add_f16_e32 v44, v14, v44
	v_fma_f16 v45, v105, s16, v245
	v_add_f16_e32 v44, v45, v44
	v_fma_f16 v45, v109, s4, v246
	v_add_f16_e32 v44, v45, v44
	v_fma_f16 v45, v113, s18, v247
	v_add_f16_e32 v44, v45, v44
	v_fma_f16 v45, v117, s15, v248
	v_add_f16_e32 v44, v45, v44
	v_fma_f16 v45, v122, s5, v249
	v_add_f16_e32 v44, v45, v44
	v_fma_f16 v45, v125, s19, v250
	v_add_f16_e32 v44, v45, v44
	v_fma_f16 v45, v129, s14, v251
	v_add_f16_e32 v44, v45, v44
	v_fma_f16 v45, v108, s16, -v216
	v_add_f16_e32 v45, v81, v45
	v_fma_f16 v47, v112, s18, -v218
	v_add_f16_e32 v45, v47, v45
	v_fma_f16 v47, v116, s5, -v219
	v_add_f16_e32 v45, v47, v45
	v_fma_f16 v47, v121, s14, -v220
	v_add_f16_e32 v45, v47, v45
	v_fma_f16 v47, v124, s19, -v221
	v_add_f16_e32 v45, v47, v45
	v_fma_f16 v47, v128, s15, -v222
	v_add_f16_e32 v45, v47, v45
	v_fma_f16 v47, v138, s4, -v223
	v_add_f16_e32 v45, v47, v45
	v_fma_f16 v47, v139, s17, -v224
	v_add_f16_e32 v45, v47, v45
	v_fma_f16 v47, v102, s16, v225
	v_add_f16_e32 v47, v14, v47
	v_fma_f16 v56, v105, s18, v227
	v_add_f16_e32 v47, v56, v47
	v_fma_f16 v56, v109, s5, v228
	v_add_f16_e32 v47, v56, v47
	v_fma_f16 v56, v113, s14, v229
	v_add_f16_e32 v47, v56, v47
	v_fma_f16 v56, v117, s19, v230
	v_add_f16_e32 v47, v56, v47
	v_fma_f16 v56, v122, s15, v231
	v_add_f16_e32 v47, v56, v47
	v_fma_f16 v56, v125, s4, v232
	v_add_f16_e32 v47, v56, v47
	v_fma_f16 v56, v129, s17, v233
	v_add_f16_e32 v47, v56, v47
	v_fma_f16 v56, v108, s15, -v199
	v_add_f16_e32 v56, v81, v56
	v_fma_f16 v119, v112, s19, -v200
	v_add_f16_e32 v56, v119, v56
	v_fma_f16 v119, v116, s16, -v201
	v_add_f16_e32 v56, v119, v56
	v_fma_f16 v119, v121, s4, -v202
	v_add_f16_e32 v56, v119, v56
	v_fma_f16 v119, v124, s14, -v203
	v_add_f16_e32 v56, v119, v56
	v_fma_f16 v119, v128, s18, -v204
	v_add_f16_e32 v56, v119, v56
	v_fma_f16 v119, v138, s17, -v205
	v_add_f16_e32 v56, v119, v56
	v_fma_f16 v119, v139, s5, -v206
	v_add_f16_e32 v56, v119, v56
	v_fma_f16 v119, v102, s15, v207
	v_add_f16_e32 v119, v14, v119
	v_fma_f16 v127, v105, s19, v209
	v_add_f16_e32 v119, v127, v119
	v_fma_f16 v127, v109, s16, v210
	v_add_f16_e32 v119, v127, v119
	v_fma_f16 v127, v113, s4, v211
	v_add_f16_e32 v119, v127, v119
	v_fma_f16 v127, v117, s14, v212
	v_add_f16_e32 v119, v127, v119
	v_fma_f16 v127, v122, s18, v213
	v_add_f16_e32 v119, v127, v119
	v_fma_f16 v127, v125, s17, v214
	v_add_f16_e32 v119, v127, v119
	v_fma_f16 v127, v129, s5, v215
	v_add_f16_e32 v119, v127, v119
	v_fma_f16 v127, v108, s14, -v183
	v_add_f16_e32 v127, v81, v127
	v_fma_f16 v130, v112, s17, -v184
	v_add_f16_e32 v127, v130, v127
	v_fma_f16 v130, v116, s19, -v185
	v_add_f16_e32 v127, v130, v127
	v_fma_f16 v130, v121, s16, -v186
	v_add_f16_e32 v127, v130, v127
	v_fma_f16 v130, v124, s5, -v187
	v_add_f16_e32 v127, v130, v127
	v_fma_f16 v130, v128, s4, -v188
	v_add_f16_e32 v127, v130, v127
	v_fma_f16 v130, v138, s15, -v189
	v_add_f16_e32 v127, v130, v127
	v_fma_f16 v130, v139, s18, -v190
	v_add_f16_e32 v127, v130, v127
	v_fma_f16 v130, v102, s14, v191
	v_fma_f16 v102, v102, s5, v159
	;; [unrolled: 1-line block ×3, first 2 shown]
	v_add_f16_e32 v102, v14, v102
	v_fma_f16 v105, v105, s15, v160
	v_add_f16_e32 v102, v105, v102
	v_fma_f16 v105, v109, s17, v161
	;; [unrolled: 2-line block ×7, first 2 shown]
	v_add_f16_e32 v102, v105, v102
	buffer_load_dword v105, off, s[36:39], 0 offset:44 ; 4-byte Folded Reload
	v_sub_f16_e32 v100, v100, v147
	v_add_f16_e32 v100, v81, v100
	v_add_f16_e32 v130, v14, v130
	v_fma_f16 v133, v108, s19, -v133
	v_fma_f16 v108, v108, s5, -v150
	;; [unrolled: 1-line block ×3, first 2 shown]
	v_add_f16_e32 v108, v81, v108
	v_fma_f16 v112, v112, s15, -v151
	v_add_f16_e32 v130, v131, v130
	v_fma_f16 v131, v109, s19, v193
	v_add_f16_e32 v108, v112, v108
	v_fma_f16 v112, v116, s17, -v152
	v_add_f16_e32 v130, v131, v130
	v_fma_f16 v131, v113, s16, v194
	v_add_f16_e32 v108, v112, v108
	v_fma_f16 v112, v121, s19, -v153
	v_add_f16_e32 v133, v81, v133
	v_add_f16_e32 v130, v131, v130
	v_fma_f16 v131, v117, s5, v195
	v_add_f16_e32 v108, v112, v108
	v_fma_f16 v112, v124, s18, -v155
	v_add_f16_e32 v133, v172, v133
	v_fma_f16 v170, v116, s18, -v170
	v_add_f16_e32 v130, v131, v130
	v_fma_f16 v131, v122, s4, v196
	v_add_f16_e32 v108, v112, v108
	v_fma_f16 v112, v128, s16, -v156
	v_add_f16_e32 v135, v182, v135
	v_fma_f16 v182, v113, s5, -v171
	v_add_f16_e32 v133, v170, v133
	v_fma_f16 v170, v121, s5, -v174
	v_add_f16_e32 v130, v131, v130
	v_fma_f16 v131, v125, s15, v197
	v_add_f16_e32 v108, v112, v108
	v_fma_f16 v112, v138, s14, -v157
	;; [unrolled: 8-line block ×3, first 2 shown]
	v_add_f16_e32 v135, v182, v135
	v_fma_f16 v182, v122, s14, -v175
	v_add_f16_e32 v133, v170, v133
	v_fma_f16 v170, v128, s14, -v178
	v_add_f16_e32 v130, v131, v130
	v_add_f16_e32 v108, v112, v108
	;; [unrolled: 1-line block ×3, first 2 shown]
	v_fma_f16 v182, v125, s16, -v177
	v_add_f16_e32 v133, v170, v133
	v_fma_f16 v170, v138, s16, -v180
	v_add_f16_e32 v135, v182, v135
	v_fma_f16 v182, v129, s15, -v179
	v_add_f16_e32 v133, v170, v133
	v_fma_f16 v170, v139, s15, -v181
	v_add_f16_e32 v135, v182, v135
	v_add_f16_e32 v133, v170, v133
	s_mov_b32 s4, 0x5040100
	v_mov_b32_e32 v132, v137
	v_mov_b32_e32 v131, v136
	;; [unrolled: 1-line block ×3, first 2 shown]
	s_waitcnt vmcnt(0)
	v_sub_f16_e32 v103, v103, v105
	v_add_f16_e32 v100, v103, v100
	buffer_load_dword v103, off, s[36:39], 0 offset:48 ; 4-byte Folded Reload
	s_waitcnt vmcnt(0)
	v_sub_f16_e32 v103, v106, v103
	v_add_f16_e32 v100, v103, v100
	buffer_load_dword v103, off, s[36:39], 0 offset:52 ; 4-byte Folded Reload
	;; [unrolled: 4-line block ×5, first 2 shown]
	s_waitcnt vmcnt(0)
	v_sub_f16_e32 v103, v123, v103
	v_add_f16_e32 v100, v103, v100
	v_sub_f16_e32 v103, v126, v148
	v_add_f16_e32 v100, v103, v100
	buffer_load_dword v103, off, s[36:39], 0 offset:12 ; 4-byte Folded Reload
	s_waitcnt vmcnt(0)
	v_add_f16_e32 v98, v103, v98
	buffer_load_dword v103, off, s[36:39], 0 offset:16 ; 4-byte Folded Reload
	v_add_f16_e32 v98, v14, v98
	v_add_f16_e32 v14, v15, v14
	;; [unrolled: 1-line block ×33, first 2 shown]
	v_mul_lo_u16_e32 v16, 17, v0
	v_lshlrev_b32_e32 v16, 2, v16
	v_pack_b32_f16 v14, v14, v15
	v_pack_b32_f16 v15, v102, v108
	s_waitcnt vmcnt(0)
	v_add_f16_e32 v99, v103, v99
	v_add_f16_e32 v98, v99, v98
	buffer_load_dword v99, off, s[36:39], 0 offset:20 ; 4-byte Folded Reload
	s_waitcnt vmcnt(0)
	v_add_f16_e32 v99, v99, v101
	v_add_f16_e32 v98, v99, v98
	buffer_load_dword v99, off, s[36:39], 0 offset:24 ; 4-byte Folded Reload
	;; [unrolled: 4-line block ×6, first 2 shown]
	s_waitcnt vmcnt(0)
	v_add_f16_e32 v99, v99, v120
	v_add_f16_e32 v98, v99, v98
	v_pack_b32_f16 v17, v98, v100
	ds_write2_b32 v16, v14, v17 offset1:1
	v_pack_b32_f16 v14, v130, v127
	ds_write2_b32 v16, v15, v14 offset0:2 offset1:3
	v_pack_b32_f16 v14, v47, v45
	v_pack_b32_f16 v15, v119, v56
	ds_write2_b32 v16, v15, v14 offset0:4 offset1:5
	v_pack_b32_f16 v14, v42, v41
	;; [unrolled: 3-line block ×5, first 2 shown]
	v_pack_b32_f16 v15, v226, v217
	ds_write2_b32 v16, v15, v14 offset0:12 offset1:13
	buffer_load_dword v127, off, s[36:39], 0 ; 4-byte Folded Reload
	buffer_load_dword v14, off, s[36:39], 0 offset:4 ; 4-byte Folded Reload
	buffer_load_dword v15, off, s[36:39], 0 offset:8 ; 4-byte Folded Reload
	v_mov_b32_e32 v130, v48
	v_mov_b32_e32 v135, v51
	;; [unrolled: 1-line block ×4, first 2 shown]
	s_waitcnt vmcnt(0)
	v_pack_b32_f16 v14, v15, v14
	v_pack_b32_f16 v15, v149, v140
	ds_write2_b32 v16, v15, v14 offset0:14 offset1:15
	v_perm_b32 v14, v97, v96, s4
	ds_write_b32 v16, v14 offset:64
.LBB0_17:
	s_or_b64 exec, exec, s[2:3]
	v_add_u32_e32 v40, 0x400, v31
	s_waitcnt lgkmcnt(0)
	; wave barrier
	s_waitcnt lgkmcnt(0)
	ds_read2_b32 v[16:17], v40 offset0:152 offset1:203
	v_add_u32_e32 v20, 0x600, v31
	ds_read2_b32 v[20:21], v20 offset0:126 offset1:177
	v_add_u32_e32 v56, 0x800, v31
	ds_read2_b32 v[24:25], v56 offset0:100 offset1:151
	s_waitcnt lgkmcnt(2)
	v_lshrrev_b32_e32 v42, 16, v16
	v_mul_f16_sdwa v87, v32, v42 dst_sel:DWORD dst_unused:UNUSED_PAD src0_sel:WORD_1 src1_sel:DWORD
	v_lshrrev_b32_e32 v44, 16, v17
	v_fma_f16 v87, v32, v16, v87
	v_mul_f16_sdwa v16, v32, v16 dst_sel:DWORD dst_unused:UNUSED_PAD src0_sel:WORD_1 src1_sel:DWORD
	v_fma_f16 v16, v32, v42, -v16
	v_mul_f16_sdwa v32, v33, v44 dst_sel:DWORD dst_unused:UNUSED_PAD src0_sel:WORD_1 src1_sel:DWORD
	s_waitcnt lgkmcnt(1)
	v_lshrrev_b32_e32 v46, 16, v20
	v_fma_f16 v32, v33, v17, v32
	v_mul_f16_sdwa v17, v33, v17 dst_sel:DWORD dst_unused:UNUSED_PAD src0_sel:WORD_1 src1_sel:DWORD
	v_fma_f16 v17, v33, v44, -v17
	v_mul_f16_sdwa v33, v34, v46 dst_sel:DWORD dst_unused:UNUSED_PAD src0_sel:WORD_1 src1_sel:DWORD
	v_lshrrev_b32_e32 v78, 16, v21
	v_fma_f16 v33, v34, v20, v33
	v_mul_f16_sdwa v20, v34, v20 dst_sel:DWORD dst_unused:UNUSED_PAD src0_sel:WORD_1 src1_sel:DWORD
	ds_read2_b32 v[14:15], v31 offset1:51
	ds_read2_b32 v[18:19], v31 offset0:102 offset1:153
	ds_read2_b32 v[22:23], v31 offset0:204 offset1:255
	;; [unrolled: 1-line block ×4, first 2 shown]
	v_fma_f16 v20, v34, v46, -v20
	v_mul_f16_sdwa v34, v35, v78 dst_sel:DWORD dst_unused:UNUSED_PAD src0_sel:WORD_1 src1_sel:DWORD
	s_waitcnt lgkmcnt(5)
	v_lshrrev_b32_e32 v80, 16, v24
	v_fma_f16 v34, v35, v21, v34
	v_mul_f16_sdwa v21, v35, v21 dst_sel:DWORD dst_unused:UNUSED_PAD src0_sel:WORD_1 src1_sel:DWORD
	v_fma_f16 v21, v35, v78, -v21
	v_mul_f16_sdwa v35, v36, v80 dst_sel:DWORD dst_unused:UNUSED_PAD src0_sel:WORD_1 src1_sel:DWORD
	v_lshrrev_b32_e32 v82, 16, v25
	v_fma_f16 v35, v36, v24, v35
	v_mul_f16_sdwa v24, v36, v24 dst_sel:DWORD dst_unused:UNUSED_PAD src0_sel:WORD_1 src1_sel:DWORD
	v_fma_f16 v24, v36, v80, -v24
	v_mul_f16_sdwa v36, v37, v82 dst_sel:DWORD dst_unused:UNUSED_PAD src0_sel:WORD_1 src1_sel:DWORD
	s_waitcnt lgkmcnt(0)
	v_lshrrev_b32_e32 v84, 16, v28
	v_fma_f16 v36, v37, v25, v36
	v_mul_f16_sdwa v25, v37, v25 dst_sel:DWORD dst_unused:UNUSED_PAD src0_sel:WORD_1 src1_sel:DWORD
	v_fma_f16 v25, v37, v82, -v25
	v_mul_f16_sdwa v37, v38, v84 dst_sel:DWORD dst_unused:UNUSED_PAD src0_sel:WORD_1 src1_sel:DWORD
	v_lshrrev_b32_e32 v86, 16, v29
	v_fma_f16 v37, v38, v28, v37
	v_mul_f16_sdwa v28, v38, v28 dst_sel:DWORD dst_unused:UNUSED_PAD src0_sel:WORD_1 src1_sel:DWORD
	v_fma_f16 v28, v38, v84, -v28
	v_mul_f16_sdwa v38, v39, v86 dst_sel:DWORD dst_unused:UNUSED_PAD src0_sel:WORD_1 src1_sel:DWORD
	v_lshrrev_b32_e32 v41, 16, v14
	v_fma_f16 v38, v39, v29, v38
	v_mul_f16_sdwa v29, v39, v29 dst_sel:DWORD dst_unused:UNUSED_PAD src0_sel:WORD_1 src1_sel:DWORD
	v_lshrrev_b32_e32 v43, 16, v15
	v_fma_f16 v29, v39, v86, -v29
	v_sub_f16_e32 v39, v14, v87
	v_sub_f16_e32 v16, v41, v16
	v_lshrrev_b32_e32 v45, 16, v18
	v_fma_f16 v14, v14, 2.0, -v39
	v_fma_f16 v41, v41, 2.0, -v16
	v_sub_f16_e32 v32, v15, v32
	v_sub_f16_e32 v17, v43, v17
	v_lshrrev_b32_e32 v47, 16, v19
	v_fma_f16 v15, v15, 2.0, -v32
	v_fma_f16 v42, v43, 2.0, -v17
	v_sub_f16_e32 v33, v18, v33
	v_sub_f16_e32 v20, v45, v20
	v_pack_b32_f16 v14, v14, v41
	v_pack_b32_f16 v16, v39, v16
	v_lshrrev_b32_e32 v79, 16, v22
	v_fma_f16 v18, v18, 2.0, -v33
	v_fma_f16 v43, v45, 2.0, -v20
	v_sub_f16_e32 v34, v19, v34
	v_sub_f16_e32 v21, v47, v21
	s_waitcnt lgkmcnt(0)
	; wave barrier
	ds_write2_b32 v127, v14, v16 offset1:17
	v_pack_b32_f16 v14, v15, v42
	v_pack_b32_f16 v15, v32, v17
	v_lshrrev_b32_e32 v81, 16, v23
	v_fma_f16 v19, v19, 2.0, -v34
	v_fma_f16 v44, v47, 2.0, -v21
	v_sub_f16_e32 v35, v22, v35
	v_sub_f16_e32 v24, v79, v24
	ds_write2_b32 v130, v14, v15 offset1:17
	v_pack_b32_f16 v14, v18, v43
	v_pack_b32_f16 v15, v33, v20
	v_lshrrev_b32_e32 v83, 16, v26
	v_fma_f16 v22, v22, 2.0, -v35
	v_fma_f16 v45, v79, 2.0, -v24
	v_sub_f16_e32 v36, v23, v36
	v_sub_f16_e32 v25, v81, v25
	;; [unrolled: 8-line block ×3, first 2 shown]
	ds_write2_b32 v132, v14, v15 offset1:17
	v_pack_b32_f16 v14, v22, v45
	v_pack_b32_f16 v15, v35, v24
	v_fma_f16 v26, v26, 2.0, -v37
	v_fma_f16 v78, v83, 2.0, -v47
	v_sub_f16_e32 v28, v27, v38
	v_sub_f16_e32 v29, v85, v29
	ds_write2_b32 v133, v14, v15 offset1:17
	v_pack_b32_f16 v14, v23, v46
	v_pack_b32_f16 v15, v36, v25
	v_fma_f16 v27, v27, 2.0, -v28
	v_fma_f16 v38, v85, 2.0, -v29
	ds_write2_b32 v134, v14, v15 offset1:17
	v_pack_b32_f16 v14, v26, v78
	v_pack_b32_f16 v15, v37, v47
	ds_write2_b32 v135, v14, v15 offset1:17
	v_pack_b32_f16 v14, v27, v38
	v_pack_b32_f16 v15, v28, v29
	ds_write2_b32 v136, v14, v15 offset1:17
	v_add_u32_e32 v14, 0x200, v31
	s_waitcnt lgkmcnt(0)
	; wave barrier
	s_waitcnt lgkmcnt(0)
	ds_read2_b32 v[18:19], v31 offset1:51
	ds_read2_b32 v[14:15], v14 offset0:76 offset1:144
	ds_read2_b32 v[26:27], v56 offset0:32 offset1:83
	;; [unrolled: 1-line block ×6, first 2 shown]
	ds_read_b32 v32, v31 offset:2992
	s_and_saveexec_b64 s[2:3], s[0:1]
	s_cbranch_execz .LBB0_19
; %bb.18:
	ds_read_b32 v28, v31 offset:1020
	ds_read_b32 v96, v31 offset:2108
	;; [unrolled: 1-line block ×3, first 2 shown]
	s_waitcnt lgkmcnt(2)
	v_lshrrev_b32_e32 v29, 16, v28
	s_waitcnt lgkmcnt(1)
	v_lshrrev_b32_e32 v97, 16, v96
	;; [unrolled: 2-line block ×3, first 2 shown]
.LBB0_19:
	s_or_b64 exec, exec, s[2:3]
	s_waitcnt lgkmcnt(6)
	v_lshrrev_b32_e32 v34, 16, v15
	v_mul_f16_sdwa v56, v8, v34 dst_sel:DWORD dst_unused:UNUSED_PAD src0_sel:WORD_1 src1_sel:DWORD
	s_waitcnt lgkmcnt(5)
	v_lshrrev_b32_e32 v35, 16, v26
	v_fma_f16 v56, v8, v15, v56
	v_mul_f16_sdwa v15, v8, v15 dst_sel:DWORD dst_unused:UNUSED_PAD src0_sel:WORD_1 src1_sel:DWORD
	v_fma_f16 v8, v8, v34, -v15
	v_mul_f16_sdwa v15, v9, v35 dst_sel:DWORD dst_unused:UNUSED_PAD src0_sel:WORD_1 src1_sel:DWORD
	s_waitcnt lgkmcnt(4)
	v_lshrrev_b32_e32 v37, 16, v24
	v_fma_f16 v15, v9, v26, v15
	v_mul_f16_sdwa v26, v9, v26 dst_sel:DWORD dst_unused:UNUSED_PAD src0_sel:WORD_1 src1_sel:DWORD
	v_fma_f16 v9, v9, v35, -v26
	v_mul_f16_sdwa v26, v4, v37 dst_sel:DWORD dst_unused:UNUSED_PAD src0_sel:WORD_1 src1_sel:DWORD
	v_lshrrev_b32_e32 v38, 16, v27
	v_fma_f16 v26, v4, v24, v26
	v_mul_f16_sdwa v24, v4, v24 dst_sel:DWORD dst_unused:UNUSED_PAD src0_sel:WORD_1 src1_sel:DWORD
	v_fma_f16 v4, v4, v37, -v24
	v_mul_f16_sdwa v24, v5, v38 dst_sel:DWORD dst_unused:UNUSED_PAD src0_sel:WORD_1 src1_sel:DWORD
	;; [unrolled: 5-line block ×3, first 2 shown]
	s_waitcnt lgkmcnt(2)
	v_lshrrev_b32_e32 v41, 16, v22
	v_fma_f16 v27, v10, v25, v27
	v_mul_f16_sdwa v25, v10, v25 dst_sel:DWORD dst_unused:UNUSED_PAD src0_sel:WORD_1 src1_sel:DWORD
	v_fma_f16 v10, v10, v40, -v25
	v_mul_f16_sdwa v25, v11, v41 dst_sel:DWORD dst_unused:UNUSED_PAD src0_sel:WORD_1 src1_sel:DWORD
	s_waitcnt lgkmcnt(1)
	v_lshrrev_b32_e32 v43, 16, v20
	v_fma_f16 v25, v11, v22, v25
	v_mul_f16_sdwa v22, v11, v22 dst_sel:DWORD dst_unused:UNUSED_PAD src0_sel:WORD_1 src1_sel:DWORD
	v_fma_f16 v11, v11, v41, -v22
	v_mul_f16_sdwa v22, v6, v43 dst_sel:DWORD dst_unused:UNUSED_PAD src0_sel:WORD_1 src1_sel:DWORD
	v_lshrrev_b32_e32 v44, 16, v23
	v_fma_f16 v22, v6, v20, v22
	v_mul_f16_sdwa v20, v6, v20 dst_sel:DWORD dst_unused:UNUSED_PAD src0_sel:WORD_1 src1_sel:DWORD
	v_fma_f16 v6, v6, v43, -v20
	v_mul_f16_sdwa v20, v7, v44 dst_sel:DWORD dst_unused:UNUSED_PAD src0_sel:WORD_1 src1_sel:DWORD
	v_lshrrev_b32_e32 v46, 16, v21
	v_fma_f16 v20, v7, v23, v20
	v_mul_f16_sdwa v23, v7, v23 dst_sel:DWORD dst_unused:UNUSED_PAD src0_sel:WORD_1 src1_sel:DWORD
	v_fma_f16 v7, v7, v44, -v23
	v_mul_f16_sdwa v23, v12, v46 dst_sel:DWORD dst_unused:UNUSED_PAD src0_sel:WORD_1 src1_sel:DWORD
	s_waitcnt lgkmcnt(0)
	v_lshrrev_b32_e32 v47, 16, v32
	v_fma_f16 v23, v12, v21, v23
	v_mul_f16_sdwa v21, v12, v21 dst_sel:DWORD dst_unused:UNUSED_PAD src0_sel:WORD_1 src1_sel:DWORD
	v_fma_f16 v12, v12, v46, -v21
	v_mul_f16_sdwa v21, v13, v47 dst_sel:DWORD dst_unused:UNUSED_PAD src0_sel:WORD_1 src1_sel:DWORD
	v_fma_f16 v21, v13, v32, v21
	v_mul_f16_sdwa v32, v13, v32 dst_sel:DWORD dst_unused:UNUSED_PAD src0_sel:WORD_1 src1_sel:DWORD
	v_add_f16_e32 v34, v56, v15
	v_lshrrev_b32_e32 v33, 16, v18
	v_fma_f16 v13, v13, v47, -v32
	v_add_f16_e32 v32, v18, v56
	v_fma_f16 v18, v34, -0.5, v18
	v_sub_f16_e32 v34, v8, v9
	s_mov_b32 s4, 0xbaee
	s_movk_i32 s5, 0x3aee
	v_fma_f16 v35, v34, s4, v18
	v_fma_f16 v18, v34, s5, v18
	v_add_f16_e32 v34, v33, v8
	v_add_f16_e32 v8, v8, v9
	v_add_f16_e32 v34, v34, v9
	v_fma_f16 v8, v8, -0.5, v33
	v_sub_f16_e32 v9, v56, v15
	v_add_f16_e32 v33, v26, v24
	v_lshrrev_b32_e32 v36, 16, v19
	v_add_f16_e32 v32, v32, v15
	v_fma_f16 v15, v9, s5, v8
	v_fma_f16 v8, v9, s4, v8
	v_add_f16_e32 v9, v19, v26
	v_fma_f16 v19, v33, -0.5, v19
	v_sub_f16_e32 v33, v4, v5
	v_fma_f16 v37, v33, s4, v19
	v_fma_f16 v19, v33, s5, v19
	v_add_f16_e32 v33, v36, v4
	v_add_f16_e32 v4, v4, v5
	v_add_f16_e32 v33, v33, v5
	v_fma_f16 v4, v4, -0.5, v36
	v_sub_f16_e32 v5, v26, v24
	v_add_f16_e32 v26, v27, v25
	v_lshrrev_b32_e32 v39, 16, v16
	v_add_f16_e32 v9, v9, v24
	v_fma_f16 v24, v5, s5, v4
	v_fma_f16 v4, v5, s4, v4
	v_add_f16_e32 v5, v16, v27
	v_fma_f16 v16, v26, -0.5, v16
	v_sub_f16_e32 v26, v10, v11
	;; [unrolled: 15-line block ×4, first 2 shown]
	v_fma_f16 v39, v22, s4, v14
	v_fma_f16 v14, v22, s5, v14
	v_add_f16_e32 v22, v45, v12
	v_add_f16_e32 v12, v12, v13
	;; [unrolled: 1-line block ×3, first 2 shown]
	v_fma_f16 v12, v12, -0.5, v45
	v_sub_f16_e32 v13, v23, v21
	v_add_f16_e32 v7, v7, v21
	v_fma_f16 v21, v13, s5, v12
	v_fma_f16 v12, v13, s4, v12
	v_pack_b32_f16 v13, v32, v34
	v_pack_b32_f16 v15, v35, v15
	;; [unrolled: 1-line block ×4, first 2 shown]
	s_waitcnt lgkmcnt(0)
	; wave barrier
	ds_write2_b32 v57, v13, v15 offset1:34
	ds_write_b32 v57, v8 offset:272
	v_pack_b32_f16 v8, v9, v33
	v_pack_b32_f16 v9, v37, v24
	ds_write_b32 v58, v4 offset:272
	v_pack_b32_f16 v4, v5, v26
	v_pack_b32_f16 v5, v36, v25
	ds_write2_b32 v58, v8, v9 offset1:34
	ds_write2_b32 v59, v4, v5 offset1:34
	v_pack_b32_f16 v4, v16, v10
	ds_write_b32 v59, v4 offset:272
	v_pack_b32_f16 v4, v11, v27
	v_pack_b32_f16 v5, v38, v20
	ds_write2_b32 v61, v4, v5 offset1:34
	v_pack_b32_f16 v4, v17, v6
	ds_write_b32 v61, v4 offset:272
	v_pack_b32_f16 v4, v7, v22
	v_pack_b32_f16 v5, v39, v21
	ds_write2_b32 v62, v4, v5 offset1:34
	v_pack_b32_f16 v4, v14, v12
	ds_write_b32 v62, v4 offset:272
	s_and_saveexec_b64 s[2:3], s[0:1]
	s_cbranch_execz .LBB0_21
; %bb.20:
	v_mul_f16_sdwa v4, v3, v52 dst_sel:DWORD dst_unused:UNUSED_PAD src0_sel:WORD_1 src1_sel:DWORD
	v_mul_f16_sdwa v5, v2, v96 dst_sel:DWORD dst_unused:UNUSED_PAD src0_sel:WORD_1 src1_sel:DWORD
	v_mul_f16_sdwa v7, v2, v97 dst_sel:DWORD dst_unused:UNUSED_PAD src0_sel:WORD_1 src1_sel:DWORD
	v_mul_f16_sdwa v8, v3, v53 dst_sel:DWORD dst_unused:UNUSED_PAD src0_sel:WORD_1 src1_sel:DWORD
	v_fma_f16 v4, v3, v53, -v4
	v_fma_f16 v5, v2, v97, -v5
	v_fma_f16 v2, v2, v96, v7
	v_fma_f16 v3, v3, v52, v8
	v_add_f16_e32 v7, v2, v28
	v_add_f16_e32 v8, v5, v4
	v_sub_f16_e32 v9, v2, v3
	v_add_f16_e32 v2, v2, v3
	v_add_f16_e32 v6, v5, v29
	;; [unrolled: 1-line block ×3, first 2 shown]
	v_fma_f16 v8, v8, -0.5, v29
	v_fma_f16 v2, v2, -0.5, v28
	v_sub_f16_e32 v3, v5, v4
	v_add_f16_e32 v6, v4, v6
	v_fma_f16 v10, v9, s4, v8
	v_fma_f16 v8, v9, s5, v8
	v_fma_f16 v4, v3, s5, v2
	v_fma_f16 v2, v3, s4, v2
	v_pack_b32_f16 v3, v7, v6
	v_pack_b32_f16 v2, v2, v8
	v_add_u32_e32 v5, 0x800, v145
	ds_write2_b32 v5, v3, v2 offset0:202 offset1:236
	v_pack_b32_f16 v2, v4, v10
	ds_write_b32 v145, v2 offset:3128
.LBB0_21:
	s_or_b64 exec, exec, s[2:3]
	v_add_u32_e32 v18, 0x400, v31
	s_waitcnt lgkmcnt(0)
	; wave barrier
	s_waitcnt lgkmcnt(0)
	ds_read2_b32 v[4:5], v18 offset0:152 offset1:203
	v_add_u32_e32 v20, 0x600, v31
	ds_read2_b32 v[8:9], v20 offset0:126 offset1:177
	v_add_u32_e32 v27, 0x800, v31
	ds_read2_b32 v[12:13], v27 offset0:100 offset1:151
	s_waitcnt lgkmcnt(2)
	v_lshrrev_b32_e32 v21, 16, v4
	v_mul_f16_sdwa v39, v54, v21 dst_sel:DWORD dst_unused:UNUSED_PAD src0_sel:WORD_1 src1_sel:DWORD
	v_lshrrev_b32_e32 v23, 16, v5
	v_fma_f16 v39, v54, v4, v39
	v_mul_f16_sdwa v4, v54, v4 dst_sel:DWORD dst_unused:UNUSED_PAD src0_sel:WORD_1 src1_sel:DWORD
	v_fma_f16 v4, v54, v21, -v4
	v_mul_f16_sdwa v21, v55, v23 dst_sel:DWORD dst_unused:UNUSED_PAD src0_sel:WORD_1 src1_sel:DWORD
	s_waitcnt lgkmcnt(1)
	v_lshrrev_b32_e32 v25, 16, v8
	v_fma_f16 v21, v55, v5, v21
	v_mul_f16_sdwa v5, v55, v5 dst_sel:DWORD dst_unused:UNUSED_PAD src0_sel:WORD_1 src1_sel:DWORD
	v_fma_f16 v5, v55, v23, -v5
	v_mul_f16_sdwa v23, v54, v25 dst_sel:DWORD dst_unused:UNUSED_PAD src0_sel:WORD_1 src1_sel:DWORD
	v_lshrrev_b32_e32 v28, 16, v9
	v_fma_f16 v23, v54, v8, v23
	v_mul_f16_sdwa v8, v54, v8 dst_sel:DWORD dst_unused:UNUSED_PAD src0_sel:WORD_1 src1_sel:DWORD
	ds_read2_b32 v[2:3], v31 offset1:51
	ds_read2_b32 v[6:7], v31 offset0:102 offset1:153
	ds_read2_b32 v[10:11], v31 offset0:204 offset1:255
	;; [unrolled: 1-line block ×4, first 2 shown]
	v_fma_f16 v8, v54, v25, -v8
	v_mul_f16_sdwa v25, v55, v28 dst_sel:DWORD dst_unused:UNUSED_PAD src0_sel:WORD_1 src1_sel:DWORD
	s_waitcnt lgkmcnt(5)
	v_lshrrev_b32_e32 v32, 16, v12
	v_fma_f16 v25, v55, v9, v25
	v_mul_f16_sdwa v9, v55, v9 dst_sel:DWORD dst_unused:UNUSED_PAD src0_sel:WORD_1 src1_sel:DWORD
	v_fma_f16 v9, v55, v28, -v9
	v_mul_f16_sdwa v28, v64, v32 dst_sel:DWORD dst_unused:UNUSED_PAD src0_sel:WORD_1 src1_sel:DWORD
	v_lshrrev_b32_e32 v34, 16, v13
	v_fma_f16 v28, v64, v12, v28
	v_mul_f16_sdwa v12, v64, v12 dst_sel:DWORD dst_unused:UNUSED_PAD src0_sel:WORD_1 src1_sel:DWORD
	v_fma_f16 v12, v64, v32, -v12
	v_mul_f16_sdwa v32, v63, v34 dst_sel:DWORD dst_unused:UNUSED_PAD src0_sel:WORD_1 src1_sel:DWORD
	s_waitcnt lgkmcnt(0)
	v_lshrrev_b32_e32 v36, 16, v16
	v_fma_f16 v32, v63, v13, v32
	v_mul_f16_sdwa v13, v63, v13 dst_sel:DWORD dst_unused:UNUSED_PAD src0_sel:WORD_1 src1_sel:DWORD
	v_fma_f16 v13, v63, v34, -v13
	v_mul_f16_sdwa v34, v60, v36 dst_sel:DWORD dst_unused:UNUSED_PAD src0_sel:WORD_1 src1_sel:DWORD
	v_lshrrev_b32_e32 v38, 16, v17
	v_fma_f16 v34, v60, v16, v34
	v_mul_f16_sdwa v16, v60, v16 dst_sel:DWORD dst_unused:UNUSED_PAD src0_sel:WORD_1 src1_sel:DWORD
	v_fma_f16 v16, v60, v36, -v16
	v_mul_f16_sdwa v36, v65, v38 dst_sel:DWORD dst_unused:UNUSED_PAD src0_sel:WORD_1 src1_sel:DWORD
	v_lshrrev_b32_e32 v19, 16, v2
	v_lshrrev_b32_e32 v22, 16, v3
	v_fma_f16 v36, v65, v17, v36
	v_mul_f16_sdwa v17, v65, v17 dst_sel:DWORD dst_unused:UNUSED_PAD src0_sel:WORD_1 src1_sel:DWORD
	v_fma_f16 v17, v65, v38, -v17
	v_sub_f16_e32 v38, v2, v39
	v_sub_f16_e32 v4, v19, v4
	v_sub_f16_e32 v21, v3, v21
	v_sub_f16_e32 v5, v22, v5
	v_lshrrev_b32_e32 v24, 16, v6
	v_lshrrev_b32_e32 v26, 16, v7
	v_fma_f16 v2, v2, 2.0, -v38
	v_fma_f16 v19, v19, 2.0, -v4
	;; [unrolled: 1-line block ×4, first 2 shown]
	v_sub_f16_e32 v23, v6, v23
	v_sub_f16_e32 v8, v24, v8
	;; [unrolled: 1-line block ×4, first 2 shown]
	v_pack_b32_f16 v2, v2, v19
	v_pack_b32_f16 v3, v3, v22
	v_lshrrev_b32_e32 v29, 16, v10
	v_fma_f16 v6, v6, 2.0, -v23
	v_fma_f16 v24, v24, 2.0, -v8
	;; [unrolled: 1-line block ×4, first 2 shown]
	s_waitcnt lgkmcnt(0)
	; wave barrier
	v_pack_b32_f16 v4, v38, v4
	ds_write2_b32 v31, v2, v3 offset1:51
	v_pack_b32_f16 v2, v21, v5
	v_lshrrev_b32_e32 v33, 16, v11
	v_sub_f16_e32 v28, v10, v28
	v_sub_f16_e32 v12, v29, v12
	ds_write2_b32 v31, v4, v2 offset0:102 offset1:153
	v_pack_b32_f16 v2, v6, v24
	v_pack_b32_f16 v4, v7, v26
	v_lshrrev_b32_e32 v35, 16, v14
	v_fma_f16 v10, v10, 2.0, -v28
	v_fma_f16 v29, v29, 2.0, -v12
	v_sub_f16_e32 v32, v11, v32
	v_sub_f16_e32 v13, v33, v13
	v_pack_b32_f16 v3, v23, v8
	ds_write2_b32 v31, v2, v4 offset0:204 offset1:255
	v_pack_b32_f16 v2, v25, v9
	v_lshrrev_b32_e32 v37, 16, v15
	v_fma_f16 v11, v11, 2.0, -v32
	v_fma_f16 v33, v33, 2.0, -v13
	v_sub_f16_e32 v34, v14, v34
	v_sub_f16_e32 v16, v35, v16
	ds_write2_b32 v18, v3, v2 offset0:50 offset1:101
	v_pack_b32_f16 v2, v10, v29
	v_pack_b32_f16 v3, v28, v12
	v_add_u32_e32 v4, 0x400, v141
	v_fma_f16 v14, v14, 2.0, -v34
	v_fma_f16 v35, v35, 2.0, -v16
	v_sub_f16_e32 v36, v15, v36
	v_sub_f16_e32 v17, v37, v17
	ds_write2_b32 v4, v2, v3 offset0:152 offset1:254
	v_pack_b32_f16 v2, v11, v33
	v_pack_b32_f16 v3, v32, v13
	v_add_u32_e32 v4, 0x400, v142
	v_fma_f16 v15, v15, 2.0, -v36
	v_fma_f16 v37, v37, 2.0, -v17
	ds_write2_b32 v4, v2, v3 offset0:152 offset1:254
	v_pack_b32_f16 v2, v14, v35
	v_pack_b32_f16 v3, v34, v16
	v_add_u32_e32 v4, 0x800, v143
	ds_write2_b32 v4, v2, v3 offset0:100 offset1:202
	v_pack_b32_f16 v2, v15, v37
	v_pack_b32_f16 v3, v36, v17
	v_add_u32_e32 v4, 0x800, v144
	ds_write2_b32 v4, v2, v3 offset0:100 offset1:202
	s_waitcnt lgkmcnt(0)
	; wave barrier
	s_waitcnt lgkmcnt(0)
	ds_read2_b32 v[2:3], v31 offset1:51
	ds_read2_b32 v[4:5], v18 offset0:152 offset1:203
	ds_read2_b32 v[8:9], v20 offset0:126 offset1:177
	;; [unrolled: 1-line block ×5, first 2 shown]
	s_waitcnt lgkmcnt(4)
	v_lshrrev_b32_e32 v21, 16, v4
	v_mul_f16_sdwa v39, v66, v21 dst_sel:DWORD dst_unused:UNUSED_PAD src0_sel:WORD_1 src1_sel:DWORD
	v_lshrrev_b32_e32 v23, 16, v5
	v_fma_f16 v39, v66, v4, v39
	v_mul_f16_sdwa v4, v66, v4 dst_sel:DWORD dst_unused:UNUSED_PAD src0_sel:WORD_1 src1_sel:DWORD
	v_fma_f16 v4, v66, v21, -v4
	v_mul_f16_sdwa v21, v67, v23 dst_sel:DWORD dst_unused:UNUSED_PAD src0_sel:WORD_1 src1_sel:DWORD
	s_waitcnt lgkmcnt(3)
	v_lshrrev_b32_e32 v25, 16, v8
	v_fma_f16 v21, v67, v5, v21
	v_mul_f16_sdwa v5, v67, v5 dst_sel:DWORD dst_unused:UNUSED_PAD src0_sel:WORD_1 src1_sel:DWORD
	v_fma_f16 v5, v67, v23, -v5
	v_mul_f16_sdwa v23, v68, v25 dst_sel:DWORD dst_unused:UNUSED_PAD src0_sel:WORD_1 src1_sel:DWORD
	v_lshrrev_b32_e32 v28, 16, v9
	v_fma_f16 v23, v68, v8, v23
	v_mul_f16_sdwa v8, v68, v8 dst_sel:DWORD dst_unused:UNUSED_PAD src0_sel:WORD_1 src1_sel:DWORD
	ds_read2_b32 v[14:15], v18 offset0:50 offset1:101
	ds_read2_b32 v[16:17], v27 offset0:202 offset1:253
	v_fma_f16 v8, v68, v25, -v8
	v_mul_f16_sdwa v25, v69, v28 dst_sel:DWORD dst_unused:UNUSED_PAD src0_sel:WORD_1 src1_sel:DWORD
	s_waitcnt lgkmcnt(4)
	v_lshrrev_b32_e32 v32, 16, v12
	v_fma_f16 v25, v69, v9, v25
	v_mul_f16_sdwa v9, v69, v9 dst_sel:DWORD dst_unused:UNUSED_PAD src0_sel:WORD_1 src1_sel:DWORD
	v_fma_f16 v9, v69, v28, -v9
	v_mul_f16_sdwa v28, v66, v32 dst_sel:DWORD dst_unused:UNUSED_PAD src0_sel:WORD_1 src1_sel:DWORD
	v_lshrrev_b32_e32 v34, 16, v13
	v_fma_f16 v28, v66, v12, v28
	v_mul_f16_sdwa v12, v66, v12 dst_sel:DWORD dst_unused:UNUSED_PAD src0_sel:WORD_1 src1_sel:DWORD
	v_fma_f16 v12, v66, v32, -v12
	v_mul_f16_sdwa v32, v67, v34 dst_sel:DWORD dst_unused:UNUSED_PAD src0_sel:WORD_1 src1_sel:DWORD
	s_waitcnt lgkmcnt(0)
	v_lshrrev_b32_e32 v36, 16, v16
	v_fma_f16 v32, v67, v13, v32
	v_mul_f16_sdwa v13, v67, v13 dst_sel:DWORD dst_unused:UNUSED_PAD src0_sel:WORD_1 src1_sel:DWORD
	v_fma_f16 v13, v67, v34, -v13
	v_mul_f16_sdwa v34, v68, v36 dst_sel:DWORD dst_unused:UNUSED_PAD src0_sel:WORD_1 src1_sel:DWORD
	v_lshrrev_b32_e32 v38, 16, v17
	v_fma_f16 v34, v68, v16, v34
	v_mul_f16_sdwa v16, v68, v16 dst_sel:DWORD dst_unused:UNUSED_PAD src0_sel:WORD_1 src1_sel:DWORD
	v_fma_f16 v16, v68, v36, -v16
	v_mul_f16_sdwa v36, v69, v38 dst_sel:DWORD dst_unused:UNUSED_PAD src0_sel:WORD_1 src1_sel:DWORD
	v_lshrrev_b32_e32 v19, 16, v2
	v_lshrrev_b32_e32 v22, 16, v3
	v_fma_f16 v36, v69, v17, v36
	v_mul_f16_sdwa v17, v69, v17 dst_sel:DWORD dst_unused:UNUSED_PAD src0_sel:WORD_1 src1_sel:DWORD
	v_fma_f16 v17, v69, v38, -v17
	v_sub_f16_e32 v38, v2, v39
	v_sub_f16_e32 v4, v19, v4
	;; [unrolled: 1-line block ×4, first 2 shown]
	v_lshrrev_b32_e32 v24, 16, v6
	v_lshrrev_b32_e32 v26, 16, v7
	v_fma_f16 v2, v2, 2.0, -v38
	v_fma_f16 v19, v19, 2.0, -v4
	;; [unrolled: 1-line block ×4, first 2 shown]
	v_sub_f16_e32 v23, v6, v23
	v_sub_f16_e32 v8, v24, v8
	v_sub_f16_e32 v25, v7, v25
	v_sub_f16_e32 v9, v26, v9
	v_pack_b32_f16 v2, v2, v19
	v_pack_b32_f16 v3, v3, v22
	v_lshrrev_b32_e32 v29, 16, v10
	v_lshrrev_b32_e32 v33, 16, v11
	v_fma_f16 v6, v6, 2.0, -v23
	v_fma_f16 v24, v24, 2.0, -v8
	;; [unrolled: 1-line block ×4, first 2 shown]
	s_waitcnt lgkmcnt(0)
	; wave barrier
	v_pack_b32_f16 v4, v38, v4
	ds_write2_b32 v31, v2, v3 offset1:51
	v_pack_b32_f16 v2, v21, v5
	v_sub_f16_e32 v28, v10, v28
	v_sub_f16_e32 v12, v29, v12
	;; [unrolled: 1-line block ×4, first 2 shown]
	ds_write2_b32 v31, v4, v2 offset0:204 offset1:255
	v_pack_b32_f16 v2, v6, v24
	v_pack_b32_f16 v4, v7, v26
	v_lshrrev_b32_e32 v35, 16, v14
	v_lshrrev_b32_e32 v37, 16, v15
	v_fma_f16 v10, v10, 2.0, -v28
	v_fma_f16 v29, v29, 2.0, -v12
	;; [unrolled: 1-line block ×4, first 2 shown]
	v_pack_b32_f16 v3, v23, v8
	ds_write2_b32 v31, v2, v4 offset0:102 offset1:153
	v_pack_b32_f16 v2, v25, v9
	v_sub_f16_e32 v34, v14, v34
	v_sub_f16_e32 v16, v35, v16
	;; [unrolled: 1-line block ×4, first 2 shown]
	ds_write2_b32 v18, v3, v2 offset0:50 offset1:101
	v_pack_b32_f16 v2, v10, v29
	v_pack_b32_f16 v4, v11, v33
	v_fma_f16 v14, v14, 2.0, -v34
	v_fma_f16 v35, v35, 2.0, -v16
	;; [unrolled: 1-line block ×4, first 2 shown]
	v_pack_b32_f16 v3, v28, v12
	ds_write2_b32 v18, v2, v4 offset0:152 offset1:203
	v_pack_b32_f16 v2, v32, v13
	ds_write2_b32 v27, v3, v2 offset0:100 offset1:151
	v_pack_b32_f16 v2, v14, v35
	v_pack_b32_f16 v4, v15, v37
	;; [unrolled: 1-line block ×3, first 2 shown]
	ds_write2_b32 v20, v2, v4 offset0:126 offset1:177
	v_pack_b32_f16 v2, v36, v17
	ds_write2_b32 v27, v3, v2 offset0:202 offset1:253
	s_waitcnt lgkmcnt(0)
	; wave barrier
	s_waitcnt lgkmcnt(0)
	ds_read2_b32 v[2:3], v31 offset1:51
	ds_read2_b32 v[4:5], v18 offset0:152 offset1:203
	ds_read2_b32 v[8:9], v20 offset0:126 offset1:177
	;; [unrolled: 1-line block ×5, first 2 shown]
	s_waitcnt lgkmcnt(4)
	v_lshrrev_b32_e32 v21, 16, v4
	v_mul_f16_sdwa v39, v70, v21 dst_sel:DWORD dst_unused:UNUSED_PAD src0_sel:WORD_1 src1_sel:DWORD
	v_lshrrev_b32_e32 v23, 16, v5
	v_fma_f16 v39, v70, v4, v39
	v_mul_f16_sdwa v4, v70, v4 dst_sel:DWORD dst_unused:UNUSED_PAD src0_sel:WORD_1 src1_sel:DWORD
	v_fma_f16 v4, v70, v21, -v4
	v_mul_f16_sdwa v21, v71, v23 dst_sel:DWORD dst_unused:UNUSED_PAD src0_sel:WORD_1 src1_sel:DWORD
	s_waitcnt lgkmcnt(3)
	v_lshrrev_b32_e32 v25, 16, v8
	v_fma_f16 v21, v71, v5, v21
	v_mul_f16_sdwa v5, v71, v5 dst_sel:DWORD dst_unused:UNUSED_PAD src0_sel:WORD_1 src1_sel:DWORD
	v_fma_f16 v5, v71, v23, -v5
	v_mul_f16_sdwa v23, v72, v25 dst_sel:DWORD dst_unused:UNUSED_PAD src0_sel:WORD_1 src1_sel:DWORD
	v_lshrrev_b32_e32 v28, 16, v9
	v_fma_f16 v23, v72, v8, v23
	v_mul_f16_sdwa v8, v72, v8 dst_sel:DWORD dst_unused:UNUSED_PAD src0_sel:WORD_1 src1_sel:DWORD
	ds_read2_b32 v[14:15], v18 offset0:50 offset1:101
	ds_read2_b32 v[16:17], v27 offset0:202 offset1:253
	v_fma_f16 v8, v72, v25, -v8
	v_mul_f16_sdwa v25, v73, v28 dst_sel:DWORD dst_unused:UNUSED_PAD src0_sel:WORD_1 src1_sel:DWORD
	s_waitcnt lgkmcnt(4)
	v_lshrrev_b32_e32 v32, 16, v12
	v_fma_f16 v25, v73, v9, v25
	v_mul_f16_sdwa v9, v73, v9 dst_sel:DWORD dst_unused:UNUSED_PAD src0_sel:WORD_1 src1_sel:DWORD
	v_fma_f16 v9, v73, v28, -v9
	v_mul_f16_sdwa v28, v74, v32 dst_sel:DWORD dst_unused:UNUSED_PAD src0_sel:WORD_1 src1_sel:DWORD
	v_lshrrev_b32_e32 v34, 16, v13
	v_fma_f16 v28, v74, v12, v28
	v_mul_f16_sdwa v12, v74, v12 dst_sel:DWORD dst_unused:UNUSED_PAD src0_sel:WORD_1 src1_sel:DWORD
	v_fma_f16 v12, v74, v32, -v12
	v_mul_f16_sdwa v32, v75, v34 dst_sel:DWORD dst_unused:UNUSED_PAD src0_sel:WORD_1 src1_sel:DWORD
	s_waitcnt lgkmcnt(0)
	v_lshrrev_b32_e32 v36, 16, v16
	v_fma_f16 v32, v75, v13, v32
	v_mul_f16_sdwa v13, v75, v13 dst_sel:DWORD dst_unused:UNUSED_PAD src0_sel:WORD_1 src1_sel:DWORD
	v_fma_f16 v13, v75, v34, -v13
	v_mul_f16_sdwa v34, v76, v36 dst_sel:DWORD dst_unused:UNUSED_PAD src0_sel:WORD_1 src1_sel:DWORD
	v_lshrrev_b32_e32 v38, 16, v17
	v_fma_f16 v34, v76, v16, v34
	v_mul_f16_sdwa v16, v76, v16 dst_sel:DWORD dst_unused:UNUSED_PAD src0_sel:WORD_1 src1_sel:DWORD
	v_fma_f16 v16, v76, v36, -v16
	v_mul_f16_sdwa v36, v77, v38 dst_sel:DWORD dst_unused:UNUSED_PAD src0_sel:WORD_1 src1_sel:DWORD
	v_lshrrev_b32_e32 v19, 16, v2
	v_lshrrev_b32_e32 v22, 16, v3
	v_fma_f16 v36, v77, v17, v36
	v_mul_f16_sdwa v17, v77, v17 dst_sel:DWORD dst_unused:UNUSED_PAD src0_sel:WORD_1 src1_sel:DWORD
	v_fma_f16 v17, v77, v38, -v17
	v_sub_f16_e32 v38, v2, v39
	v_sub_f16_e32 v4, v19, v4
	;; [unrolled: 1-line block ×4, first 2 shown]
	v_lshrrev_b32_e32 v24, 16, v6
	v_lshrrev_b32_e32 v26, 16, v7
	v_fma_f16 v2, v2, 2.0, -v38
	v_fma_f16 v19, v19, 2.0, -v4
	;; [unrolled: 1-line block ×4, first 2 shown]
	v_sub_f16_e32 v23, v6, v23
	v_sub_f16_e32 v8, v24, v8
	;; [unrolled: 1-line block ×4, first 2 shown]
	v_pack_b32_f16 v2, v2, v19
	v_pack_b32_f16 v3, v3, v22
	v_lshrrev_b32_e32 v29, 16, v10
	v_lshrrev_b32_e32 v33, 16, v11
	v_fma_f16 v6, v6, 2.0, -v23
	v_fma_f16 v24, v24, 2.0, -v8
	;; [unrolled: 1-line block ×4, first 2 shown]
	v_pack_b32_f16 v4, v38, v4
	ds_write2_b32 v31, v2, v3 offset1:51
	v_pack_b32_f16 v2, v21, v5
	v_sub_f16_e32 v28, v10, v28
	v_sub_f16_e32 v12, v29, v12
	;; [unrolled: 1-line block ×4, first 2 shown]
	ds_write2_b32 v18, v4, v2 offset0:152 offset1:203
	v_pack_b32_f16 v2, v6, v24
	v_pack_b32_f16 v4, v7, v26
	v_lshrrev_b32_e32 v35, 16, v14
	v_lshrrev_b32_e32 v37, 16, v15
	v_fma_f16 v10, v10, 2.0, -v28
	v_fma_f16 v29, v29, 2.0, -v12
	v_fma_f16 v11, v11, 2.0, -v32
	v_fma_f16 v33, v33, 2.0, -v13
	v_pack_b32_f16 v3, v23, v8
	ds_write2_b32 v31, v2, v4 offset0:102 offset1:153
	v_pack_b32_f16 v2, v25, v9
	v_sub_f16_e32 v34, v14, v34
	v_sub_f16_e32 v16, v35, v16
	;; [unrolled: 1-line block ×4, first 2 shown]
	ds_write2_b32 v20, v3, v2 offset0:126 offset1:177
	v_pack_b32_f16 v2, v10, v29
	v_pack_b32_f16 v4, v11, v33
	v_fma_f16 v14, v14, 2.0, -v34
	v_fma_f16 v35, v35, 2.0, -v16
	;; [unrolled: 1-line block ×4, first 2 shown]
	v_pack_b32_f16 v3, v28, v12
	ds_write2_b32 v31, v2, v4 offset0:204 offset1:255
	v_pack_b32_f16 v2, v32, v13
	ds_write2_b32 v27, v3, v2 offset0:100 offset1:151
	v_pack_b32_f16 v2, v14, v35
	v_pack_b32_f16 v4, v15, v37
	;; [unrolled: 1-line block ×3, first 2 shown]
	ds_write2_b32 v18, v2, v4 offset0:50 offset1:101
	v_pack_b32_f16 v2, v36, v17
	ds_write2_b32 v27, v3, v2 offset0:202 offset1:253
	s_waitcnt lgkmcnt(0)
	; wave barrier
	s_waitcnt lgkmcnt(0)
	s_and_b64 exec, exec, vcc
	s_cbranch_execz .LBB0_23
; %bb.22:
	global_load_dword v10, v30, s[6:7]
	v_mad_u64_u32 v[3:4], s[0:1], s10, v146, 0
	v_mad_u64_u32 v[5:6], s[0:1], s8, v0, 0
	ds_read_b32 v11, v31
	s_mov_b32 s14, 0x14141414
	v_mad_u64_u32 v[7:8], s[0:1], s11, v146, v[4:5]
	s_mov_b32 s15, 0x3f541414
	s_waitcnt lgkmcnt(0)
	v_lshrrev_b32_e32 v1, 16, v11
	v_mad_u64_u32 v[8:9], s[0:1], s9, v0, v[6:7]
	v_mov_b32_e32 v4, v7
	v_lshlrev_b64 v[3:4], 2, v[3:4]
	v_mov_b32_e32 v6, v8
	v_mov_b32_e32 v12, s13
	v_lshlrev_b64 v[5:6], 2, v[5:6]
	s_movk_i32 s16, 0x1ff
	s_movk_i32 s10, 0xffe
	v_mov_b32_e32 v2, 0x7c00
	s_movk_i32 s18, 0x40f
	s_mov_b32 s17, 0x8000
	s_mul_i32 s11, s8, 0xc0
	s_mul_hi_u32 s19, s8, 0x180
	s_mul_i32 s13, s8, 0x180
	s_waitcnt vmcnt(0)
	v_mul_f16_sdwa v7, v1, v10 dst_sel:DWORD dst_unused:UNUSED_PAD src0_sel:DWORD src1_sel:WORD_1
	v_fma_f16 v7, v11, v10, v7
	v_mul_f16_sdwa v8, v11, v10 dst_sel:DWORD dst_unused:UNUSED_PAD src0_sel:DWORD src1_sel:WORD_1
	v_cvt_f32_f16_e32 v7, v7
	v_fma_f16 v1, v10, v1, -v8
	v_cvt_f32_f16_e32 v1, v1
	v_cvt_f64_f32_e32 v[7:8], v7
	v_cvt_f64_f32_e32 v[9:10], v1
	v_add_co_u32_e32 v1, vcc, s12, v3
	v_mul_f64 v[7:8], v[7:8], s[14:15]
	v_mul_f64 v[9:10], v[9:10], s[14:15]
	v_addc_co_u32_e32 v3, vcc, v12, v4, vcc
	v_add_co_u32_e32 v4, vcc, v1, v5
	v_addc_co_u32_e32 v5, vcc, v3, v6, vcc
	v_and_or_b32 v6, v8, s16, v7
	v_and_or_b32 v9, v10, s16, v9
	v_cmp_ne_u32_e32 vcc, 0, v6
	v_lshrrev_b32_e32 v7, 8, v8
	v_bfe_u32 v11, v8, 20, 11
	v_cndmask_b32_e64 v6, 0, 1, vcc
	v_cmp_ne_u32_e32 vcc, 0, v9
	v_lshrrev_b32_e32 v12, 8, v10
	v_bfe_u32 v13, v10, 20, 11
	v_sub_u32_e32 v14, 0x3f1, v11
	v_cndmask_b32_e64 v9, 0, 1, vcc
	v_and_or_b32 v6, v7, s10, v6
	v_sub_u32_e32 v15, 0x3f1, v13
	v_med3_i32 v7, v14, 0, 13
	v_and_or_b32 v9, v12, s10, v9
	v_or_b32_e32 v14, 0x1000, v6
	v_add_u32_e32 v11, 0xfffffc10, v11
	v_med3_i32 v12, v15, 0, 13
	v_cmp_ne_u32_e32 vcc, 0, v6
	v_or_b32_e32 v16, 0x1000, v9
	v_lshrrev_b32_e32 v18, v7, v14
	v_add_u32_e32 v13, 0xfffffc10, v13
	v_lshl_or_b32 v15, v11, 12, v6
	v_cndmask_b32_e64 v6, 0, 1, vcc
	v_cmp_ne_u32_e32 vcc, 0, v9
	v_lshrrev_b32_e32 v19, v12, v16
	v_lshlrev_b32_e32 v7, v7, v18
	v_lshl_or_b32 v17, v13, 12, v9
	v_cndmask_b32_e64 v9, 0, 1, vcc
	v_lshlrev_b32_e32 v12, v12, v19
	v_cmp_ne_u32_e32 vcc, v7, v14
	v_cndmask_b32_e64 v7, 0, 1, vcc
	v_cmp_ne_u32_e32 vcc, v12, v16
	v_cndmask_b32_e64 v12, 0, 1, vcc
	v_or_b32_e32 v7, v18, v7
	v_cmp_gt_i32_e32 vcc, 1, v11
	v_cndmask_b32_e32 v7, v15, v7, vcc
	v_or_b32_e32 v12, v19, v12
	v_cmp_gt_i32_e32 vcc, 1, v13
	v_and_b32_e32 v14, 7, v7
	v_cndmask_b32_e32 v12, v17, v12, vcc
	v_cmp_lt_i32_e32 vcc, 5, v14
	v_cmp_eq_u32_e64 s[0:1], 3, v14
	v_lshrrev_b32_e32 v7, 2, v7
	v_and_b32_e32 v15, 7, v12
	s_or_b64 vcc, s[0:1], vcc
	v_cmp_lt_i32_e64 s[2:3], 5, v15
	v_cmp_eq_u32_e64 s[4:5], 3, v15
	v_addc_co_u32_e32 v7, vcc, 0, v7, vcc
	v_lshrrev_b32_e32 v12, 2, v12
	s_or_b64 vcc, s[4:5], s[2:3]
	v_addc_co_u32_e32 v12, vcc, 0, v12, vcc
	v_cmp_gt_i32_e32 vcc, 31, v11
	v_cndmask_b32_e32 v7, v2, v7, vcc
	v_cmp_gt_i32_e32 vcc, 31, v13
	v_lshl_or_b32 v6, v6, 9, v2
	v_cndmask_b32_e32 v12, v2, v12, vcc
	v_cmp_eq_u32_e32 vcc, s18, v11
	v_lshrrev_b32_e32 v8, 16, v8
	v_lshl_or_b32 v9, v9, 9, v2
	v_cndmask_b32_e32 v6, v7, v6, vcc
	v_cmp_eq_u32_e32 vcc, s18, v13
	v_lshrrev_b32_e32 v10, 16, v10
	v_cndmask_b32_e32 v7, v12, v9, vcc
	v_and_or_b32 v6, v8, s17, v6
	v_and_or_b32 v7, v10, s17, v7
	v_and_b32_e32 v6, 0xffff, v6
	v_lshl_or_b32 v6, v7, 16, v6
	global_store_dword v[4:5], v6, off
	global_load_dword v8, v30, s[6:7] offset:192
	ds_read2_b32 v[6:7], v30 offset0:48 offset1:96
	s_mul_i32 s0, s9, 0xc0
	s_mul_hi_u32 s12, s8, 0xc0
	s_add_i32 s12, s12, s0
	v_add_co_u32_e32 v4, vcc, s11, v4
	s_waitcnt lgkmcnt(0)
	v_lshrrev_b32_e32 v9, 16, v6
	s_waitcnt vmcnt(0)
	v_mul_f16_sdwa v10, v9, v8 dst_sel:DWORD dst_unused:UNUSED_PAD src0_sel:DWORD src1_sel:WORD_1
	v_fma_f16 v10, v6, v8, v10
	v_mul_f16_sdwa v6, v6, v8 dst_sel:DWORD dst_unused:UNUSED_PAD src0_sel:DWORD src1_sel:WORD_1
	v_cvt_f32_f16_e32 v10, v10
	v_fma_f16 v6, v8, v9, -v6
	v_cvt_f32_f16_e32 v6, v6
	v_cvt_f64_f32_e32 v[8:9], v10
	v_cvt_f64_f32_e32 v[10:11], v6
	v_mov_b32_e32 v6, s12
	v_mul_f64 v[8:9], v[8:9], s[14:15]
	v_addc_co_u32_e32 v5, vcc, v5, v6, vcc
	v_mul_f64 v[10:11], v[10:11], s[14:15]
	v_and_or_b32 v6, v9, s16, v8
	v_cmp_ne_u32_e32 vcc, 0, v6
	v_lshrrev_b32_e32 v8, 8, v9
	v_and_or_b32 v10, v11, s16, v10
	v_bfe_u32 v12, v9, 20, 11
	v_cndmask_b32_e64 v6, 0, 1, vcc
	v_cmp_ne_u32_e32 vcc, 0, v10
	v_lshrrev_b32_e32 v13, 8, v11
	v_bfe_u32 v14, v11, 20, 11
	v_sub_u32_e32 v15, 0x3f1, v12
	v_cndmask_b32_e64 v10, 0, 1, vcc
	v_and_or_b32 v6, v8, s10, v6
	v_sub_u32_e32 v16, 0x3f1, v14
	v_med3_i32 v8, v15, 0, 13
	v_and_or_b32 v10, v13, s10, v10
	v_or_b32_e32 v15, 0x1000, v6
	v_add_u32_e32 v12, 0xfffffc10, v12
	v_med3_i32 v13, v16, 0, 13
	v_cmp_ne_u32_e32 vcc, 0, v6
	v_or_b32_e32 v17, 0x1000, v10
	v_lshrrev_b32_e32 v19, v8, v15
	v_add_u32_e32 v14, 0xfffffc10, v14
	v_lshl_or_b32 v16, v12, 12, v6
	v_cndmask_b32_e64 v6, 0, 1, vcc
	v_cmp_ne_u32_e32 vcc, 0, v10
	v_lshrrev_b32_e32 v20, v13, v17
	v_lshlrev_b32_e32 v8, v8, v19
	v_lshl_or_b32 v18, v14, 12, v10
	v_cndmask_b32_e64 v10, 0, 1, vcc
	v_lshlrev_b32_e32 v13, v13, v20
	v_cmp_ne_u32_e32 vcc, v8, v15
	v_cndmask_b32_e64 v8, 0, 1, vcc
	v_cmp_ne_u32_e32 vcc, v13, v17
	v_cndmask_b32_e64 v13, 0, 1, vcc
	v_or_b32_e32 v8, v19, v8
	v_cmp_gt_i32_e32 vcc, 1, v12
	v_cndmask_b32_e32 v8, v16, v8, vcc
	v_or_b32_e32 v13, v20, v13
	v_cmp_gt_i32_e32 vcc, 1, v14
	v_and_b32_e32 v15, 7, v8
	v_cndmask_b32_e32 v13, v18, v13, vcc
	v_cmp_lt_i32_e32 vcc, 5, v15
	v_cmp_eq_u32_e64 s[0:1], 3, v15
	v_lshrrev_b32_e32 v8, 2, v8
	v_and_b32_e32 v16, 7, v13
	s_or_b64 vcc, s[0:1], vcc
	v_cmp_lt_i32_e64 s[2:3], 5, v16
	v_cmp_eq_u32_e64 s[4:5], 3, v16
	v_addc_co_u32_e32 v8, vcc, 0, v8, vcc
	v_lshrrev_b32_e32 v13, 2, v13
	s_or_b64 vcc, s[4:5], s[2:3]
	v_addc_co_u32_e32 v13, vcc, 0, v13, vcc
	v_cmp_gt_i32_e32 vcc, 31, v12
	v_cndmask_b32_e32 v8, v2, v8, vcc
	v_cmp_gt_i32_e32 vcc, 31, v14
	v_lshl_or_b32 v6, v6, 9, v2
	v_cndmask_b32_e32 v13, v2, v13, vcc
	v_cmp_eq_u32_e32 vcc, s18, v12
	v_lshrrev_b32_e32 v9, 16, v9
	v_lshl_or_b32 v10, v10, 9, v2
	v_cndmask_b32_e32 v6, v8, v6, vcc
	v_cmp_eq_u32_e32 vcc, s18, v14
	v_lshrrev_b32_e32 v11, 16, v11
	v_cndmask_b32_e32 v8, v13, v10, vcc
	v_and_or_b32 v6, v9, s17, v6
	v_and_or_b32 v8, v11, s17, v8
	v_and_b32_e32 v6, 0xffff, v6
	v_lshl_or_b32 v6, v8, 16, v6
	global_store_dword v[4:5], v6, off
	global_load_dword v6, v30, s[6:7] offset:384
	v_lshrrev_b32_e32 v8, 16, v7
	v_mov_b32_e32 v10, s12
	v_add_co_u32_e32 v4, vcc, s11, v4
	v_addc_co_u32_e32 v5, vcc, v5, v10, vcc
	s_waitcnt vmcnt(0)
	v_mul_f16_sdwa v9, v8, v6 dst_sel:DWORD dst_unused:UNUSED_PAD src0_sel:DWORD src1_sel:WORD_1
	v_fma_f16 v9, v7, v6, v9
	v_mul_f16_sdwa v7, v7, v6 dst_sel:DWORD dst_unused:UNUSED_PAD src0_sel:DWORD src1_sel:WORD_1
	v_cvt_f32_f16_e32 v9, v9
	v_fma_f16 v6, v6, v8, -v7
	v_cvt_f32_f16_e32 v8, v6
	v_cvt_f64_f32_e32 v[6:7], v9
	v_cvt_f64_f32_e32 v[8:9], v8
	v_mul_f64 v[6:7], v[6:7], s[14:15]
	v_mul_f64 v[8:9], v[8:9], s[14:15]
	v_and_or_b32 v6, v7, s16, v6
	v_cmp_ne_u32_e32 vcc, 0, v6
	v_and_or_b32 v8, v9, s16, v8
	v_lshrrev_b32_e32 v10, 8, v7
	v_bfe_u32 v11, v7, 20, 11
	v_cndmask_b32_e64 v6, 0, 1, vcc
	v_cmp_ne_u32_e32 vcc, 0, v8
	v_lshrrev_b32_e32 v12, 8, v9
	v_bfe_u32 v13, v9, 20, 11
	v_sub_u32_e32 v14, 0x3f1, v11
	v_cndmask_b32_e64 v8, 0, 1, vcc
	v_and_or_b32 v6, v10, s10, v6
	v_sub_u32_e32 v15, 0x3f1, v13
	v_med3_i32 v10, v14, 0, 13
	v_and_or_b32 v8, v12, s10, v8
	v_or_b32_e32 v14, 0x1000, v6
	v_add_u32_e32 v11, 0xfffffc10, v11
	v_med3_i32 v12, v15, 0, 13
	v_cmp_ne_u32_e32 vcc, 0, v6
	v_or_b32_e32 v16, 0x1000, v8
	v_lshrrev_b32_e32 v18, v10, v14
	v_add_u32_e32 v13, 0xfffffc10, v13
	v_lshl_or_b32 v15, v11, 12, v6
	v_cndmask_b32_e64 v6, 0, 1, vcc
	v_cmp_ne_u32_e32 vcc, 0, v8
	v_lshrrev_b32_e32 v19, v12, v16
	v_lshlrev_b32_e32 v10, v10, v18
	v_lshl_or_b32 v17, v13, 12, v8
	v_cndmask_b32_e64 v8, 0, 1, vcc
	v_lshlrev_b32_e32 v12, v12, v19
	v_cmp_ne_u32_e32 vcc, v10, v14
	v_cndmask_b32_e64 v10, 0, 1, vcc
	v_cmp_ne_u32_e32 vcc, v12, v16
	v_cndmask_b32_e64 v12, 0, 1, vcc
	v_or_b32_e32 v10, v18, v10
	v_cmp_gt_i32_e32 vcc, 1, v11
	v_cndmask_b32_e32 v10, v15, v10, vcc
	v_or_b32_e32 v12, v19, v12
	v_cmp_gt_i32_e32 vcc, 1, v13
	v_and_b32_e32 v14, 7, v10
	v_cndmask_b32_e32 v12, v17, v12, vcc
	v_cmp_lt_i32_e32 vcc, 5, v14
	v_cmp_eq_u32_e64 s[0:1], 3, v14
	v_lshrrev_b32_e32 v10, 2, v10
	v_and_b32_e32 v15, 7, v12
	s_or_b64 vcc, s[0:1], vcc
	v_cmp_lt_i32_e64 s[2:3], 5, v15
	v_cmp_eq_u32_e64 s[4:5], 3, v15
	v_addc_co_u32_e32 v10, vcc, 0, v10, vcc
	v_lshrrev_b32_e32 v12, 2, v12
	s_or_b64 vcc, s[4:5], s[2:3]
	v_addc_co_u32_e32 v12, vcc, 0, v12, vcc
	v_cmp_gt_i32_e32 vcc, 31, v11
	v_cndmask_b32_e32 v10, v2, v10, vcc
	v_cmp_gt_i32_e32 vcc, 31, v13
	v_lshl_or_b32 v6, v6, 9, v2
	v_cndmask_b32_e32 v12, v2, v12, vcc
	v_cmp_eq_u32_e32 vcc, s18, v11
	v_lshrrev_b32_e32 v7, 16, v7
	v_lshl_or_b32 v8, v8, 9, v2
	v_cndmask_b32_e32 v6, v10, v6, vcc
	v_cmp_eq_u32_e32 vcc, s18, v13
	v_lshrrev_b32_e32 v9, 16, v9
	v_cndmask_b32_e32 v8, v12, v8, vcc
	v_and_or_b32 v6, v7, s17, v6
	v_and_or_b32 v7, v9, s17, v8
	v_and_b32_e32 v6, 0xffff, v6
	v_lshl_or_b32 v6, v7, 16, v6
	global_store_dword v[4:5], v6, off
	global_load_dword v8, v30, s[6:7] offset:576
	ds_read2_b32 v[6:7], v30 offset0:144 offset1:192
	v_add_co_u32_e32 v4, vcc, s11, v4
	s_waitcnt lgkmcnt(0)
	v_lshrrev_b32_e32 v9, 16, v6
	s_waitcnt vmcnt(0)
	v_mul_f16_sdwa v10, v9, v8 dst_sel:DWORD dst_unused:UNUSED_PAD src0_sel:DWORD src1_sel:WORD_1
	v_fma_f16 v10, v6, v8, v10
	v_mul_f16_sdwa v6, v6, v8 dst_sel:DWORD dst_unused:UNUSED_PAD src0_sel:DWORD src1_sel:WORD_1
	v_cvt_f32_f16_e32 v10, v10
	v_fma_f16 v6, v8, v9, -v6
	v_cvt_f32_f16_e32 v6, v6
	v_cvt_f64_f32_e32 v[8:9], v10
	v_cvt_f64_f32_e32 v[10:11], v6
	v_mov_b32_e32 v6, s12
	v_mul_f64 v[8:9], v[8:9], s[14:15]
	v_addc_co_u32_e32 v5, vcc, v5, v6, vcc
	v_mul_f64 v[10:11], v[10:11], s[14:15]
	v_and_or_b32 v6, v9, s16, v8
	v_cmp_ne_u32_e32 vcc, 0, v6
	v_lshrrev_b32_e32 v8, 8, v9
	v_and_or_b32 v10, v11, s16, v10
	v_bfe_u32 v12, v9, 20, 11
	v_cndmask_b32_e64 v6, 0, 1, vcc
	v_cmp_ne_u32_e32 vcc, 0, v10
	v_lshrrev_b32_e32 v13, 8, v11
	v_bfe_u32 v14, v11, 20, 11
	v_sub_u32_e32 v15, 0x3f1, v12
	v_cndmask_b32_e64 v10, 0, 1, vcc
	v_and_or_b32 v6, v8, s10, v6
	v_sub_u32_e32 v16, 0x3f1, v14
	v_med3_i32 v8, v15, 0, 13
	v_and_or_b32 v10, v13, s10, v10
	v_or_b32_e32 v15, 0x1000, v6
	v_add_u32_e32 v12, 0xfffffc10, v12
	v_med3_i32 v13, v16, 0, 13
	v_cmp_ne_u32_e32 vcc, 0, v6
	v_or_b32_e32 v17, 0x1000, v10
	v_lshrrev_b32_e32 v19, v8, v15
	v_add_u32_e32 v14, 0xfffffc10, v14
	v_lshl_or_b32 v16, v12, 12, v6
	v_cndmask_b32_e64 v6, 0, 1, vcc
	v_cmp_ne_u32_e32 vcc, 0, v10
	v_lshrrev_b32_e32 v20, v13, v17
	v_lshlrev_b32_e32 v8, v8, v19
	v_lshl_or_b32 v18, v14, 12, v10
	v_cndmask_b32_e64 v10, 0, 1, vcc
	v_lshlrev_b32_e32 v13, v13, v20
	v_cmp_ne_u32_e32 vcc, v8, v15
	v_cndmask_b32_e64 v8, 0, 1, vcc
	v_cmp_ne_u32_e32 vcc, v13, v17
	v_cndmask_b32_e64 v13, 0, 1, vcc
	v_or_b32_e32 v8, v19, v8
	v_cmp_gt_i32_e32 vcc, 1, v12
	v_cndmask_b32_e32 v8, v16, v8, vcc
	v_or_b32_e32 v13, v20, v13
	v_cmp_gt_i32_e32 vcc, 1, v14
	v_and_b32_e32 v15, 7, v8
	v_cndmask_b32_e32 v13, v18, v13, vcc
	v_cmp_lt_i32_e32 vcc, 5, v15
	v_cmp_eq_u32_e64 s[0:1], 3, v15
	v_lshrrev_b32_e32 v8, 2, v8
	v_and_b32_e32 v16, 7, v13
	s_or_b64 vcc, s[0:1], vcc
	v_cmp_lt_i32_e64 s[2:3], 5, v16
	v_cmp_eq_u32_e64 s[4:5], 3, v16
	v_addc_co_u32_e32 v8, vcc, 0, v8, vcc
	v_lshrrev_b32_e32 v13, 2, v13
	s_or_b64 vcc, s[4:5], s[2:3]
	v_addc_co_u32_e32 v13, vcc, 0, v13, vcc
	v_cmp_gt_i32_e32 vcc, 31, v12
	v_cndmask_b32_e32 v8, v2, v8, vcc
	v_cmp_gt_i32_e32 vcc, 31, v14
	v_lshl_or_b32 v6, v6, 9, v2
	v_cndmask_b32_e32 v13, v2, v13, vcc
	v_cmp_eq_u32_e32 vcc, s18, v12
	v_lshrrev_b32_e32 v9, 16, v9
	v_lshl_or_b32 v10, v10, 9, v2
	v_cndmask_b32_e32 v6, v8, v6, vcc
	v_cmp_eq_u32_e32 vcc, s18, v14
	v_lshrrev_b32_e32 v11, 16, v11
	v_cndmask_b32_e32 v8, v13, v10, vcc
	v_and_or_b32 v6, v9, s17, v6
	v_and_or_b32 v8, v11, s17, v8
	v_and_b32_e32 v6, 0xffff, v6
	v_lshl_or_b32 v6, v8, 16, v6
	global_store_dword v[4:5], v6, off
	global_load_dword v10, v30, s[6:7] offset:768
	v_or_b32_e32 v11, 0xc0, v0
	v_mad_u64_u32 v[8:9], s[0:1], s8, v11, 0
	v_lshrrev_b32_e32 v12, 16, v7
	v_mov_b32_e32 v6, v9
	s_waitcnt vmcnt(0)
	v_mul_f16_sdwa v9, v12, v10 dst_sel:DWORD dst_unused:UNUSED_PAD src0_sel:DWORD src1_sel:WORD_1
	v_fma_f16 v9, v7, v10, v9
	v_mul_f16_sdwa v7, v7, v10 dst_sel:DWORD dst_unused:UNUSED_PAD src0_sel:DWORD src1_sel:WORD_1
	v_cvt_f32_f16_e32 v9, v9
	v_fma_f16 v7, v10, v12, -v7
	v_cvt_f32_f16_e32 v12, v7
	v_mad_u64_u32 v[6:7], s[0:1], s9, v11, v[6:7]
	v_cvt_f64_f32_e32 v[9:10], v9
	v_cvt_f64_f32_e32 v[11:12], v12
	v_mul_f64 v[13:14], v[9:10], s[14:15]
	v_mov_b32_e32 v9, v6
	v_lshlrev_b64 v[6:7], 2, v[8:9]
	v_mul_f64 v[8:9], v[11:12], s[14:15]
	v_add_co_u32_e32 v6, vcc, v1, v6
	v_addc_co_u32_e32 v7, vcc, v3, v7, vcc
	v_and_or_b32 v10, v14, s16, v13
	v_cmp_ne_u32_e32 vcc, 0, v10
	v_lshrrev_b32_e32 v11, 8, v14
	v_and_or_b32 v8, v9, s16, v8
	v_bfe_u32 v12, v14, 20, 11
	v_cndmask_b32_e64 v10, 0, 1, vcc
	v_cmp_ne_u32_e32 vcc, 0, v8
	v_lshrrev_b32_e32 v13, 16, v14
	v_lshrrev_b32_e32 v14, 8, v9
	v_bfe_u32 v15, v9, 20, 11
	v_sub_u32_e32 v16, 0x3f1, v12
	v_cndmask_b32_e64 v8, 0, 1, vcc
	v_and_or_b32 v10, v11, s10, v10
	v_sub_u32_e32 v17, 0x3f1, v15
	v_med3_i32 v11, v16, 0, 13
	v_and_or_b32 v8, v14, s10, v8
	v_or_b32_e32 v16, 0x1000, v10
	v_add_u32_e32 v12, 0xfffffc10, v12
	v_med3_i32 v14, v17, 0, 13
	v_cmp_ne_u32_e32 vcc, 0, v10
	v_or_b32_e32 v18, 0x1000, v8
	v_lshrrev_b32_e32 v20, v11, v16
	v_add_u32_e32 v15, 0xfffffc10, v15
	v_lshl_or_b32 v17, v12, 12, v10
	v_cndmask_b32_e64 v10, 0, 1, vcc
	v_cmp_ne_u32_e32 vcc, 0, v8
	v_lshrrev_b32_e32 v21, v14, v18
	v_lshlrev_b32_e32 v11, v11, v20
	v_lshl_or_b32 v19, v15, 12, v8
	v_cndmask_b32_e64 v8, 0, 1, vcc
	v_lshlrev_b32_e32 v14, v14, v21
	v_cmp_ne_u32_e32 vcc, v11, v16
	v_cndmask_b32_e64 v11, 0, 1, vcc
	v_cmp_ne_u32_e32 vcc, v14, v18
	v_cndmask_b32_e64 v14, 0, 1, vcc
	v_or_b32_e32 v11, v20, v11
	v_cmp_gt_i32_e32 vcc, 1, v12
	v_cndmask_b32_e32 v11, v17, v11, vcc
	v_or_b32_e32 v14, v21, v14
	v_cmp_gt_i32_e32 vcc, 1, v15
	v_and_b32_e32 v16, 7, v11
	v_cndmask_b32_e32 v14, v19, v14, vcc
	v_cmp_lt_i32_e32 vcc, 5, v16
	v_cmp_eq_u32_e64 s[0:1], 3, v16
	v_lshrrev_b32_e32 v11, 2, v11
	v_and_b32_e32 v17, 7, v14
	s_or_b64 vcc, s[0:1], vcc
	v_cmp_lt_i32_e64 s[2:3], 5, v17
	v_cmp_eq_u32_e64 s[4:5], 3, v17
	v_addc_co_u32_e32 v11, vcc, 0, v11, vcc
	v_lshrrev_b32_e32 v14, 2, v14
	s_or_b64 vcc, s[4:5], s[2:3]
	v_addc_co_u32_e32 v14, vcc, 0, v14, vcc
	v_cmp_gt_i32_e32 vcc, 31, v12
	v_cndmask_b32_e32 v11, v2, v11, vcc
	v_cmp_gt_i32_e32 vcc, 31, v15
	v_lshl_or_b32 v10, v10, 9, v2
	v_cndmask_b32_e32 v14, v2, v14, vcc
	v_cmp_eq_u32_e32 vcc, s18, v12
	v_lshl_or_b32 v8, v8, 9, v2
	v_cndmask_b32_e32 v10, v11, v10, vcc
	v_cmp_eq_u32_e32 vcc, s18, v15
	v_lshrrev_b32_e32 v9, 16, v9
	v_cndmask_b32_e32 v8, v14, v8, vcc
	v_and_or_b32 v10, v13, s17, v10
	v_and_or_b32 v8, v9, s17, v8
	v_and_b32_e32 v9, 0xffff, v10
	v_lshl_or_b32 v8, v8, 16, v9
	global_store_dword v[6:7], v8, off
	global_load_dword v8, v30, s[6:7] offset:960
	v_add_u32_e32 v6, 0x200, v30
	ds_read2_b32 v[6:7], v6 offset0:112 offset1:160
	s_mul_i32 s0, s9, 0x180
	s_add_i32 s19, s19, s0
	v_add_co_u32_e32 v4, vcc, s13, v4
	s_waitcnt lgkmcnt(0)
	v_lshrrev_b32_e32 v9, 16, v6
	s_waitcnt vmcnt(0)
	v_mul_f16_sdwa v10, v9, v8 dst_sel:DWORD dst_unused:UNUSED_PAD src0_sel:DWORD src1_sel:WORD_1
	v_fma_f16 v10, v6, v8, v10
	v_mul_f16_sdwa v6, v6, v8 dst_sel:DWORD dst_unused:UNUSED_PAD src0_sel:DWORD src1_sel:WORD_1
	v_cvt_f32_f16_e32 v10, v10
	v_fma_f16 v6, v8, v9, -v6
	v_cvt_f32_f16_e32 v6, v6
	v_cvt_f64_f32_e32 v[8:9], v10
	v_cvt_f64_f32_e32 v[10:11], v6
	v_mov_b32_e32 v6, s19
	v_mul_f64 v[8:9], v[8:9], s[14:15]
	v_addc_co_u32_e32 v5, vcc, v5, v6, vcc
	v_mul_f64 v[10:11], v[10:11], s[14:15]
	v_and_or_b32 v6, v9, s16, v8
	v_cmp_ne_u32_e32 vcc, 0, v6
	v_lshrrev_b32_e32 v8, 8, v9
	v_and_or_b32 v10, v11, s16, v10
	v_bfe_u32 v12, v9, 20, 11
	v_cndmask_b32_e64 v6, 0, 1, vcc
	v_cmp_ne_u32_e32 vcc, 0, v10
	v_lshrrev_b32_e32 v13, 8, v11
	v_bfe_u32 v14, v11, 20, 11
	v_sub_u32_e32 v15, 0x3f1, v12
	v_cndmask_b32_e64 v10, 0, 1, vcc
	v_and_or_b32 v6, v8, s10, v6
	v_sub_u32_e32 v16, 0x3f1, v14
	v_med3_i32 v8, v15, 0, 13
	v_and_or_b32 v10, v13, s10, v10
	v_or_b32_e32 v15, 0x1000, v6
	v_add_u32_e32 v12, 0xfffffc10, v12
	v_med3_i32 v13, v16, 0, 13
	v_cmp_ne_u32_e32 vcc, 0, v6
	v_or_b32_e32 v17, 0x1000, v10
	v_lshrrev_b32_e32 v19, v8, v15
	v_add_u32_e32 v14, 0xfffffc10, v14
	v_lshl_or_b32 v16, v12, 12, v6
	v_cndmask_b32_e64 v6, 0, 1, vcc
	v_cmp_ne_u32_e32 vcc, 0, v10
	v_lshrrev_b32_e32 v20, v13, v17
	v_lshlrev_b32_e32 v8, v8, v19
	v_lshl_or_b32 v18, v14, 12, v10
	v_cndmask_b32_e64 v10, 0, 1, vcc
	v_lshlrev_b32_e32 v13, v13, v20
	v_cmp_ne_u32_e32 vcc, v8, v15
	v_cndmask_b32_e64 v8, 0, 1, vcc
	v_cmp_ne_u32_e32 vcc, v13, v17
	v_cndmask_b32_e64 v13, 0, 1, vcc
	v_or_b32_e32 v8, v19, v8
	v_cmp_gt_i32_e32 vcc, 1, v12
	v_cndmask_b32_e32 v8, v16, v8, vcc
	v_or_b32_e32 v13, v20, v13
	v_cmp_gt_i32_e32 vcc, 1, v14
	v_and_b32_e32 v15, 7, v8
	v_cndmask_b32_e32 v13, v18, v13, vcc
	v_cmp_lt_i32_e32 vcc, 5, v15
	v_cmp_eq_u32_e64 s[0:1], 3, v15
	v_lshrrev_b32_e32 v8, 2, v8
	v_and_b32_e32 v16, 7, v13
	s_or_b64 vcc, s[0:1], vcc
	v_cmp_lt_i32_e64 s[2:3], 5, v16
	v_cmp_eq_u32_e64 s[4:5], 3, v16
	v_addc_co_u32_e32 v8, vcc, 0, v8, vcc
	v_lshrrev_b32_e32 v13, 2, v13
	s_or_b64 vcc, s[4:5], s[2:3]
	v_addc_co_u32_e32 v13, vcc, 0, v13, vcc
	v_cmp_gt_i32_e32 vcc, 31, v12
	v_cndmask_b32_e32 v8, v2, v8, vcc
	v_cmp_gt_i32_e32 vcc, 31, v14
	v_lshl_or_b32 v6, v6, 9, v2
	v_cndmask_b32_e32 v13, v2, v13, vcc
	v_cmp_eq_u32_e32 vcc, s18, v12
	v_lshrrev_b32_e32 v9, 16, v9
	v_lshl_or_b32 v10, v10, 9, v2
	v_cndmask_b32_e32 v6, v8, v6, vcc
	v_cmp_eq_u32_e32 vcc, s18, v14
	v_lshrrev_b32_e32 v11, 16, v11
	v_cndmask_b32_e32 v8, v13, v10, vcc
	v_and_or_b32 v6, v9, s17, v6
	v_and_or_b32 v8, v11, s17, v8
	v_and_b32_e32 v6, 0xffff, v6
	v_lshl_or_b32 v6, v8, 16, v6
	global_store_dword v[4:5], v6, off
	global_load_dword v6, v30, s[6:7] offset:1152
	v_lshrrev_b32_e32 v8, 16, v7
	v_mov_b32_e32 v10, s12
	v_add_co_u32_e32 v4, vcc, s11, v4
	v_addc_co_u32_e32 v5, vcc, v5, v10, vcc
	s_waitcnt vmcnt(0)
	v_mul_f16_sdwa v9, v8, v6 dst_sel:DWORD dst_unused:UNUSED_PAD src0_sel:DWORD src1_sel:WORD_1
	v_fma_f16 v9, v7, v6, v9
	v_mul_f16_sdwa v7, v7, v6 dst_sel:DWORD dst_unused:UNUSED_PAD src0_sel:DWORD src1_sel:WORD_1
	v_cvt_f32_f16_e32 v9, v9
	v_fma_f16 v6, v6, v8, -v7
	v_cvt_f32_f16_e32 v8, v6
	v_cvt_f64_f32_e32 v[6:7], v9
	v_cvt_f64_f32_e32 v[8:9], v8
	v_mul_f64 v[6:7], v[6:7], s[14:15]
	v_mul_f64 v[8:9], v[8:9], s[14:15]
	v_and_or_b32 v6, v7, s16, v6
	v_cmp_ne_u32_e32 vcc, 0, v6
	v_and_or_b32 v8, v9, s16, v8
	v_lshrrev_b32_e32 v10, 8, v7
	v_bfe_u32 v11, v7, 20, 11
	v_cndmask_b32_e64 v6, 0, 1, vcc
	v_cmp_ne_u32_e32 vcc, 0, v8
	v_lshrrev_b32_e32 v12, 8, v9
	v_bfe_u32 v13, v9, 20, 11
	v_sub_u32_e32 v14, 0x3f1, v11
	v_cndmask_b32_e64 v8, 0, 1, vcc
	v_and_or_b32 v6, v10, s10, v6
	v_sub_u32_e32 v15, 0x3f1, v13
	v_med3_i32 v10, v14, 0, 13
	v_and_or_b32 v8, v12, s10, v8
	v_or_b32_e32 v14, 0x1000, v6
	v_add_u32_e32 v11, 0xfffffc10, v11
	v_med3_i32 v12, v15, 0, 13
	v_cmp_ne_u32_e32 vcc, 0, v6
	v_or_b32_e32 v16, 0x1000, v8
	v_lshrrev_b32_e32 v18, v10, v14
	v_add_u32_e32 v13, 0xfffffc10, v13
	v_lshl_or_b32 v15, v11, 12, v6
	v_cndmask_b32_e64 v6, 0, 1, vcc
	v_cmp_ne_u32_e32 vcc, 0, v8
	v_lshrrev_b32_e32 v19, v12, v16
	v_lshlrev_b32_e32 v10, v10, v18
	v_lshl_or_b32 v17, v13, 12, v8
	v_cndmask_b32_e64 v8, 0, 1, vcc
	v_lshlrev_b32_e32 v12, v12, v19
	v_cmp_ne_u32_e32 vcc, v10, v14
	v_cndmask_b32_e64 v10, 0, 1, vcc
	v_cmp_ne_u32_e32 vcc, v12, v16
	v_cndmask_b32_e64 v12, 0, 1, vcc
	v_or_b32_e32 v10, v18, v10
	v_cmp_gt_i32_e32 vcc, 1, v11
	v_cndmask_b32_e32 v10, v15, v10, vcc
	v_or_b32_e32 v12, v19, v12
	v_cmp_gt_i32_e32 vcc, 1, v13
	v_and_b32_e32 v14, 7, v10
	v_cndmask_b32_e32 v12, v17, v12, vcc
	v_cmp_lt_i32_e32 vcc, 5, v14
	v_cmp_eq_u32_e64 s[0:1], 3, v14
	v_lshrrev_b32_e32 v10, 2, v10
	v_and_b32_e32 v15, 7, v12
	s_or_b64 vcc, s[0:1], vcc
	v_cmp_lt_i32_e64 s[2:3], 5, v15
	v_cmp_eq_u32_e64 s[4:5], 3, v15
	v_addc_co_u32_e32 v10, vcc, 0, v10, vcc
	v_lshrrev_b32_e32 v12, 2, v12
	s_or_b64 vcc, s[4:5], s[2:3]
	v_addc_co_u32_e32 v12, vcc, 0, v12, vcc
	v_cmp_gt_i32_e32 vcc, 31, v11
	v_cndmask_b32_e32 v10, v2, v10, vcc
	v_cmp_gt_i32_e32 vcc, 31, v13
	v_lshl_or_b32 v6, v6, 9, v2
	v_cndmask_b32_e32 v12, v2, v12, vcc
	v_cmp_eq_u32_e32 vcc, s18, v11
	v_lshrrev_b32_e32 v7, 16, v7
	v_lshl_or_b32 v8, v8, 9, v2
	v_cndmask_b32_e32 v6, v10, v6, vcc
	v_cmp_eq_u32_e32 vcc, s18, v13
	v_lshrrev_b32_e32 v9, 16, v9
	v_cndmask_b32_e32 v8, v12, v8, vcc
	v_and_or_b32 v6, v7, s17, v6
	v_and_or_b32 v7, v9, s17, v8
	v_and_b32_e32 v6, 0xffff, v6
	v_lshl_or_b32 v6, v7, 16, v6
	global_store_dword v[4:5], v6, off
	global_load_dword v8, v30, s[6:7] offset:1344
	v_add_u32_e32 v15, 0x400, v30
	ds_read2_b32 v[6:7], v15 offset0:80 offset1:128
	v_add_co_u32_e32 v4, vcc, s11, v4
	s_waitcnt lgkmcnt(0)
	v_lshrrev_b32_e32 v9, 16, v6
	s_waitcnt vmcnt(0)
	v_mul_f16_sdwa v10, v9, v8 dst_sel:DWORD dst_unused:UNUSED_PAD src0_sel:DWORD src1_sel:WORD_1
	v_fma_f16 v10, v6, v8, v10
	v_mul_f16_sdwa v6, v6, v8 dst_sel:DWORD dst_unused:UNUSED_PAD src0_sel:DWORD src1_sel:WORD_1
	v_cvt_f32_f16_e32 v10, v10
	v_fma_f16 v6, v8, v9, -v6
	v_cvt_f32_f16_e32 v6, v6
	v_cvt_f64_f32_e32 v[8:9], v10
	v_cvt_f64_f32_e32 v[10:11], v6
	v_mov_b32_e32 v6, s12
	v_mul_f64 v[8:9], v[8:9], s[14:15]
	v_addc_co_u32_e32 v5, vcc, v5, v6, vcc
	v_mul_f64 v[10:11], v[10:11], s[14:15]
	v_and_or_b32 v6, v9, s16, v8
	v_cmp_ne_u32_e32 vcc, 0, v6
	v_lshrrev_b32_e32 v8, 8, v9
	v_and_or_b32 v10, v11, s16, v10
	v_bfe_u32 v12, v9, 20, 11
	v_cndmask_b32_e64 v6, 0, 1, vcc
	v_cmp_ne_u32_e32 vcc, 0, v10
	v_lshrrev_b32_e32 v13, 8, v11
	v_bfe_u32 v14, v11, 20, 11
	v_sub_u32_e32 v16, 0x3f1, v12
	v_cndmask_b32_e64 v10, 0, 1, vcc
	v_and_or_b32 v6, v8, s10, v6
	v_sub_u32_e32 v17, 0x3f1, v14
	v_med3_i32 v8, v16, 0, 13
	v_and_or_b32 v10, v13, s10, v10
	v_or_b32_e32 v16, 0x1000, v6
	v_add_u32_e32 v12, 0xfffffc10, v12
	v_med3_i32 v13, v17, 0, 13
	v_cmp_ne_u32_e32 vcc, 0, v6
	v_or_b32_e32 v18, 0x1000, v10
	v_lshrrev_b32_e32 v20, v8, v16
	v_add_u32_e32 v14, 0xfffffc10, v14
	v_lshl_or_b32 v17, v12, 12, v6
	v_cndmask_b32_e64 v6, 0, 1, vcc
	v_cmp_ne_u32_e32 vcc, 0, v10
	v_lshrrev_b32_e32 v21, v13, v18
	v_lshlrev_b32_e32 v8, v8, v20
	v_lshl_or_b32 v19, v14, 12, v10
	v_cndmask_b32_e64 v10, 0, 1, vcc
	v_lshlrev_b32_e32 v13, v13, v21
	v_cmp_ne_u32_e32 vcc, v8, v16
	v_cndmask_b32_e64 v8, 0, 1, vcc
	v_cmp_ne_u32_e32 vcc, v13, v18
	v_cndmask_b32_e64 v13, 0, 1, vcc
	v_or_b32_e32 v8, v20, v8
	v_cmp_gt_i32_e32 vcc, 1, v12
	v_cndmask_b32_e32 v8, v17, v8, vcc
	v_or_b32_e32 v13, v21, v13
	v_cmp_gt_i32_e32 vcc, 1, v14
	v_and_b32_e32 v16, 7, v8
	v_cndmask_b32_e32 v13, v19, v13, vcc
	v_cmp_lt_i32_e32 vcc, 5, v16
	v_cmp_eq_u32_e64 s[0:1], 3, v16
	v_lshrrev_b32_e32 v8, 2, v8
	v_and_b32_e32 v17, 7, v13
	s_or_b64 vcc, s[0:1], vcc
	v_cmp_lt_i32_e64 s[2:3], 5, v17
	v_cmp_eq_u32_e64 s[4:5], 3, v17
	v_addc_co_u32_e32 v8, vcc, 0, v8, vcc
	v_lshrrev_b32_e32 v13, 2, v13
	s_or_b64 vcc, s[4:5], s[2:3]
	v_addc_co_u32_e32 v13, vcc, 0, v13, vcc
	v_cmp_gt_i32_e32 vcc, 31, v12
	v_cndmask_b32_e32 v8, v2, v8, vcc
	v_cmp_gt_i32_e32 vcc, 31, v14
	v_lshl_or_b32 v6, v6, 9, v2
	v_cndmask_b32_e32 v13, v2, v13, vcc
	v_cmp_eq_u32_e32 vcc, s18, v12
	v_lshrrev_b32_e32 v9, 16, v9
	v_lshl_or_b32 v10, v10, 9, v2
	v_cndmask_b32_e32 v6, v8, v6, vcc
	v_cmp_eq_u32_e32 vcc, s18, v14
	v_lshrrev_b32_e32 v11, 16, v11
	v_cndmask_b32_e32 v8, v13, v10, vcc
	v_and_or_b32 v6, v9, s17, v6
	v_and_or_b32 v8, v11, s17, v8
	v_and_b32_e32 v6, 0xffff, v6
	v_lshl_or_b32 v6, v8, 16, v6
	global_store_dword v[4:5], v6, off
	global_load_dword v10, v30, s[6:7] offset:1536
	v_or_b32_e32 v11, 0x180, v0
	v_mad_u64_u32 v[8:9], s[0:1], s8, v11, 0
	v_mov_b32_e32 v6, v9
	v_lshrrev_b32_e32 v9, 16, v7
	s_waitcnt vmcnt(0)
	v_mul_f16_sdwa v12, v9, v10 dst_sel:DWORD dst_unused:UNUSED_PAD src0_sel:DWORD src1_sel:WORD_1
	v_fma_f16 v12, v7, v10, v12
	v_mul_f16_sdwa v7, v7, v10 dst_sel:DWORD dst_unused:UNUSED_PAD src0_sel:DWORD src1_sel:WORD_1
	v_cvt_f32_f16_e32 v12, v12
	v_fma_f16 v7, v10, v9, -v7
	v_cvt_f32_f16_e32 v13, v7
	v_mad_u64_u32 v[6:7], s[0:1], s9, v11, v[6:7]
	v_cvt_f64_f32_e32 v[9:10], v12
	v_cvt_f64_f32_e32 v[11:12], v13
	v_mul_f64 v[13:14], v[9:10], s[14:15]
	v_mov_b32_e32 v9, v6
	v_lshlrev_b64 v[6:7], 2, v[8:9]
	v_mul_f64 v[8:9], v[11:12], s[14:15]
	v_add_co_u32_e32 v6, vcc, v1, v6
	v_addc_co_u32_e32 v7, vcc, v3, v7, vcc
	v_and_or_b32 v10, v14, s16, v13
	v_cmp_ne_u32_e32 vcc, 0, v10
	v_lshrrev_b32_e32 v11, 8, v14
	v_and_or_b32 v8, v9, s16, v8
	v_bfe_u32 v12, v14, 20, 11
	v_cndmask_b32_e64 v10, 0, 1, vcc
	v_cmp_ne_u32_e32 vcc, 0, v8
	v_lshrrev_b32_e32 v13, 16, v14
	v_lshrrev_b32_e32 v14, 8, v9
	v_bfe_u32 v16, v9, 20, 11
	v_sub_u32_e32 v17, 0x3f1, v12
	v_cndmask_b32_e64 v8, 0, 1, vcc
	v_and_or_b32 v10, v11, s10, v10
	v_sub_u32_e32 v18, 0x3f1, v16
	v_med3_i32 v11, v17, 0, 13
	v_and_or_b32 v8, v14, s10, v8
	v_or_b32_e32 v17, 0x1000, v10
	v_add_u32_e32 v12, 0xfffffc10, v12
	v_med3_i32 v14, v18, 0, 13
	v_cmp_ne_u32_e32 vcc, 0, v10
	v_or_b32_e32 v19, 0x1000, v8
	v_lshrrev_b32_e32 v21, v11, v17
	v_add_u32_e32 v16, 0xfffffc10, v16
	v_lshl_or_b32 v18, v12, 12, v10
	v_cndmask_b32_e64 v10, 0, 1, vcc
	v_cmp_ne_u32_e32 vcc, 0, v8
	v_lshrrev_b32_e32 v22, v14, v19
	v_lshlrev_b32_e32 v11, v11, v21
	v_lshl_or_b32 v20, v16, 12, v8
	v_cndmask_b32_e64 v8, 0, 1, vcc
	v_lshlrev_b32_e32 v14, v14, v22
	v_cmp_ne_u32_e32 vcc, v11, v17
	v_cndmask_b32_e64 v11, 0, 1, vcc
	v_cmp_ne_u32_e32 vcc, v14, v19
	v_cndmask_b32_e64 v14, 0, 1, vcc
	v_or_b32_e32 v11, v21, v11
	v_cmp_gt_i32_e32 vcc, 1, v12
	v_cndmask_b32_e32 v11, v18, v11, vcc
	v_or_b32_e32 v14, v22, v14
	v_cmp_gt_i32_e32 vcc, 1, v16
	v_and_b32_e32 v17, 7, v11
	v_cndmask_b32_e32 v14, v20, v14, vcc
	v_cmp_lt_i32_e32 vcc, 5, v17
	v_cmp_eq_u32_e64 s[0:1], 3, v17
	v_lshrrev_b32_e32 v11, 2, v11
	v_and_b32_e32 v18, 7, v14
	s_or_b64 vcc, s[0:1], vcc
	v_cmp_lt_i32_e64 s[2:3], 5, v18
	v_cmp_eq_u32_e64 s[4:5], 3, v18
	v_addc_co_u32_e32 v11, vcc, 0, v11, vcc
	v_lshrrev_b32_e32 v14, 2, v14
	s_or_b64 vcc, s[4:5], s[2:3]
	v_addc_co_u32_e32 v14, vcc, 0, v14, vcc
	v_cmp_gt_i32_e32 vcc, 31, v12
	v_cndmask_b32_e32 v11, v2, v11, vcc
	v_cmp_gt_i32_e32 vcc, 31, v16
	v_lshl_or_b32 v10, v10, 9, v2
	v_cndmask_b32_e32 v14, v2, v14, vcc
	v_cmp_eq_u32_e32 vcc, s18, v12
	v_lshl_or_b32 v8, v8, 9, v2
	v_cndmask_b32_e32 v10, v11, v10, vcc
	v_cmp_eq_u32_e32 vcc, s18, v16
	v_lshrrev_b32_e32 v9, 16, v9
	v_cndmask_b32_e32 v8, v14, v8, vcc
	v_and_or_b32 v10, v13, s17, v10
	v_and_or_b32 v8, v9, s17, v8
	v_and_b32_e32 v9, 0xffff, v10
	v_lshl_or_b32 v8, v8, 16, v9
	global_store_dword v[6:7], v8, off
	global_load_dword v8, v30, s[6:7] offset:1728
	ds_read2_b32 v[6:7], v15 offset0:176 offset1:224
	v_add_co_u32_e32 v4, vcc, s13, v4
	s_waitcnt lgkmcnt(0)
	v_lshrrev_b32_e32 v9, 16, v6
	s_waitcnt vmcnt(0)
	v_mul_f16_sdwa v10, v9, v8 dst_sel:DWORD dst_unused:UNUSED_PAD src0_sel:DWORD src1_sel:WORD_1
	v_fma_f16 v10, v6, v8, v10
	v_mul_f16_sdwa v6, v6, v8 dst_sel:DWORD dst_unused:UNUSED_PAD src0_sel:DWORD src1_sel:WORD_1
	v_cvt_f32_f16_e32 v10, v10
	v_fma_f16 v6, v8, v9, -v6
	v_cvt_f32_f16_e32 v6, v6
	v_cvt_f64_f32_e32 v[8:9], v10
	v_cvt_f64_f32_e32 v[10:11], v6
	v_mov_b32_e32 v6, s19
	v_mul_f64 v[8:9], v[8:9], s[14:15]
	v_addc_co_u32_e32 v5, vcc, v5, v6, vcc
	v_mul_f64 v[10:11], v[10:11], s[14:15]
	v_and_or_b32 v6, v9, s16, v8
	v_cmp_ne_u32_e32 vcc, 0, v6
	v_lshrrev_b32_e32 v8, 8, v9
	v_and_or_b32 v10, v11, s16, v10
	v_bfe_u32 v12, v9, 20, 11
	v_cndmask_b32_e64 v6, 0, 1, vcc
	v_cmp_ne_u32_e32 vcc, 0, v10
	v_lshrrev_b32_e32 v13, 8, v11
	v_bfe_u32 v14, v11, 20, 11
	v_sub_u32_e32 v15, 0x3f1, v12
	v_cndmask_b32_e64 v10, 0, 1, vcc
	v_and_or_b32 v6, v8, s10, v6
	v_sub_u32_e32 v16, 0x3f1, v14
	v_med3_i32 v8, v15, 0, 13
	v_and_or_b32 v10, v13, s10, v10
	v_or_b32_e32 v15, 0x1000, v6
	v_add_u32_e32 v12, 0xfffffc10, v12
	v_med3_i32 v13, v16, 0, 13
	v_cmp_ne_u32_e32 vcc, 0, v6
	v_or_b32_e32 v17, 0x1000, v10
	v_lshrrev_b32_e32 v19, v8, v15
	v_add_u32_e32 v14, 0xfffffc10, v14
	v_lshl_or_b32 v16, v12, 12, v6
	v_cndmask_b32_e64 v6, 0, 1, vcc
	v_cmp_ne_u32_e32 vcc, 0, v10
	v_lshrrev_b32_e32 v20, v13, v17
	v_lshlrev_b32_e32 v8, v8, v19
	v_lshl_or_b32 v18, v14, 12, v10
	v_cndmask_b32_e64 v10, 0, 1, vcc
	v_lshlrev_b32_e32 v13, v13, v20
	v_cmp_ne_u32_e32 vcc, v8, v15
	v_cndmask_b32_e64 v8, 0, 1, vcc
	v_cmp_ne_u32_e32 vcc, v13, v17
	v_cndmask_b32_e64 v13, 0, 1, vcc
	v_or_b32_e32 v8, v19, v8
	v_cmp_gt_i32_e32 vcc, 1, v12
	v_cndmask_b32_e32 v8, v16, v8, vcc
	v_or_b32_e32 v13, v20, v13
	v_cmp_gt_i32_e32 vcc, 1, v14
	v_and_b32_e32 v15, 7, v8
	v_cndmask_b32_e32 v13, v18, v13, vcc
	v_cmp_lt_i32_e32 vcc, 5, v15
	v_cmp_eq_u32_e64 s[0:1], 3, v15
	v_lshrrev_b32_e32 v8, 2, v8
	v_and_b32_e32 v16, 7, v13
	s_or_b64 vcc, s[0:1], vcc
	v_cmp_lt_i32_e64 s[2:3], 5, v16
	v_cmp_eq_u32_e64 s[4:5], 3, v16
	v_addc_co_u32_e32 v8, vcc, 0, v8, vcc
	v_lshrrev_b32_e32 v13, 2, v13
	s_or_b64 vcc, s[4:5], s[2:3]
	v_addc_co_u32_e32 v13, vcc, 0, v13, vcc
	v_cmp_gt_i32_e32 vcc, 31, v12
	v_cndmask_b32_e32 v8, v2, v8, vcc
	v_cmp_gt_i32_e32 vcc, 31, v14
	v_lshl_or_b32 v6, v6, 9, v2
	v_cndmask_b32_e32 v13, v2, v13, vcc
	v_cmp_eq_u32_e32 vcc, s18, v12
	v_lshrrev_b32_e32 v9, 16, v9
	v_lshl_or_b32 v10, v10, 9, v2
	v_cndmask_b32_e32 v6, v8, v6, vcc
	v_cmp_eq_u32_e32 vcc, s18, v14
	v_lshrrev_b32_e32 v11, 16, v11
	v_cndmask_b32_e32 v8, v13, v10, vcc
	v_and_or_b32 v6, v9, s17, v6
	v_and_or_b32 v8, v11, s17, v8
	v_and_b32_e32 v6, 0xffff, v6
	v_lshl_or_b32 v6, v8, 16, v6
	global_store_dword v[4:5], v6, off
	global_load_dword v6, v30, s[6:7] offset:1920
	v_lshrrev_b32_e32 v8, 16, v7
	v_mov_b32_e32 v10, s12
	v_add_co_u32_e32 v4, vcc, s11, v4
	v_addc_co_u32_e32 v5, vcc, v5, v10, vcc
	s_waitcnt vmcnt(0)
	v_mul_f16_sdwa v9, v8, v6 dst_sel:DWORD dst_unused:UNUSED_PAD src0_sel:DWORD src1_sel:WORD_1
	v_fma_f16 v9, v7, v6, v9
	v_mul_f16_sdwa v7, v7, v6 dst_sel:DWORD dst_unused:UNUSED_PAD src0_sel:DWORD src1_sel:WORD_1
	v_cvt_f32_f16_e32 v9, v9
	v_fma_f16 v6, v6, v8, -v7
	v_cvt_f32_f16_e32 v8, v6
	v_cvt_f64_f32_e32 v[6:7], v9
	v_cvt_f64_f32_e32 v[8:9], v8
	v_mul_f64 v[6:7], v[6:7], s[14:15]
	v_mul_f64 v[8:9], v[8:9], s[14:15]
	v_and_or_b32 v6, v7, s16, v6
	v_cmp_ne_u32_e32 vcc, 0, v6
	v_and_or_b32 v8, v9, s16, v8
	v_lshrrev_b32_e32 v10, 8, v7
	v_bfe_u32 v11, v7, 20, 11
	v_cndmask_b32_e64 v6, 0, 1, vcc
	v_cmp_ne_u32_e32 vcc, 0, v8
	v_lshrrev_b32_e32 v12, 8, v9
	v_bfe_u32 v13, v9, 20, 11
	v_sub_u32_e32 v14, 0x3f1, v11
	v_cndmask_b32_e64 v8, 0, 1, vcc
	v_and_or_b32 v6, v10, s10, v6
	v_sub_u32_e32 v15, 0x3f1, v13
	v_med3_i32 v10, v14, 0, 13
	v_and_or_b32 v8, v12, s10, v8
	v_or_b32_e32 v14, 0x1000, v6
	v_add_u32_e32 v11, 0xfffffc10, v11
	v_med3_i32 v12, v15, 0, 13
	v_cmp_ne_u32_e32 vcc, 0, v6
	v_or_b32_e32 v16, 0x1000, v8
	v_lshrrev_b32_e32 v18, v10, v14
	v_add_u32_e32 v13, 0xfffffc10, v13
	v_lshl_or_b32 v15, v11, 12, v6
	v_cndmask_b32_e64 v6, 0, 1, vcc
	v_cmp_ne_u32_e32 vcc, 0, v8
	v_lshrrev_b32_e32 v19, v12, v16
	v_lshlrev_b32_e32 v10, v10, v18
	v_lshl_or_b32 v17, v13, 12, v8
	v_cndmask_b32_e64 v8, 0, 1, vcc
	v_lshlrev_b32_e32 v12, v12, v19
	v_cmp_ne_u32_e32 vcc, v10, v14
	v_cndmask_b32_e64 v10, 0, 1, vcc
	v_cmp_ne_u32_e32 vcc, v12, v16
	v_cndmask_b32_e64 v12, 0, 1, vcc
	v_or_b32_e32 v10, v18, v10
	v_cmp_gt_i32_e32 vcc, 1, v11
	v_cndmask_b32_e32 v10, v15, v10, vcc
	v_or_b32_e32 v12, v19, v12
	v_cmp_gt_i32_e32 vcc, 1, v13
	v_and_b32_e32 v14, 7, v10
	v_cndmask_b32_e32 v12, v17, v12, vcc
	v_cmp_lt_i32_e32 vcc, 5, v14
	v_cmp_eq_u32_e64 s[0:1], 3, v14
	v_lshrrev_b32_e32 v10, 2, v10
	v_and_b32_e32 v15, 7, v12
	s_or_b64 vcc, s[0:1], vcc
	v_cmp_lt_i32_e64 s[2:3], 5, v15
	v_cmp_eq_u32_e64 s[4:5], 3, v15
	v_addc_co_u32_e32 v10, vcc, 0, v10, vcc
	v_lshrrev_b32_e32 v12, 2, v12
	s_or_b64 vcc, s[4:5], s[2:3]
	v_addc_co_u32_e32 v12, vcc, 0, v12, vcc
	v_cmp_gt_i32_e32 vcc, 31, v11
	v_cndmask_b32_e32 v10, v2, v10, vcc
	v_cmp_gt_i32_e32 vcc, 31, v13
	v_lshl_or_b32 v6, v6, 9, v2
	v_cndmask_b32_e32 v12, v2, v12, vcc
	v_cmp_eq_u32_e32 vcc, s18, v11
	v_lshrrev_b32_e32 v7, 16, v7
	v_lshl_or_b32 v8, v8, 9, v2
	v_cndmask_b32_e32 v6, v10, v6, vcc
	v_cmp_eq_u32_e32 vcc, s18, v13
	v_lshrrev_b32_e32 v9, 16, v9
	v_cndmask_b32_e32 v8, v12, v8, vcc
	v_and_or_b32 v6, v7, s17, v6
	v_and_or_b32 v7, v9, s17, v8
	v_and_b32_e32 v6, 0xffff, v6
	v_lshl_or_b32 v6, v7, 16, v6
	global_store_dword v[4:5], v6, off
	global_load_dword v8, v30, s[6:7] offset:2112
	v_add_u32_e32 v15, 0x800, v30
	ds_read2_b32 v[6:7], v15 offset0:16 offset1:64
	v_add_co_u32_e32 v4, vcc, s11, v4
	s_waitcnt lgkmcnt(0)
	v_lshrrev_b32_e32 v9, 16, v6
	s_waitcnt vmcnt(0)
	v_mul_f16_sdwa v10, v9, v8 dst_sel:DWORD dst_unused:UNUSED_PAD src0_sel:DWORD src1_sel:WORD_1
	v_fma_f16 v10, v6, v8, v10
	v_mul_f16_sdwa v6, v6, v8 dst_sel:DWORD dst_unused:UNUSED_PAD src0_sel:DWORD src1_sel:WORD_1
	v_cvt_f32_f16_e32 v10, v10
	v_fma_f16 v6, v8, v9, -v6
	v_cvt_f32_f16_e32 v6, v6
	v_cvt_f64_f32_e32 v[8:9], v10
	v_cvt_f64_f32_e32 v[10:11], v6
	v_mov_b32_e32 v6, s12
	v_mul_f64 v[8:9], v[8:9], s[14:15]
	v_addc_co_u32_e32 v5, vcc, v5, v6, vcc
	v_mul_f64 v[10:11], v[10:11], s[14:15]
	v_and_or_b32 v6, v9, s16, v8
	v_cmp_ne_u32_e32 vcc, 0, v6
	v_lshrrev_b32_e32 v8, 8, v9
	v_and_or_b32 v10, v11, s16, v10
	v_bfe_u32 v12, v9, 20, 11
	v_cndmask_b32_e64 v6, 0, 1, vcc
	v_cmp_ne_u32_e32 vcc, 0, v10
	v_lshrrev_b32_e32 v13, 8, v11
	v_bfe_u32 v14, v11, 20, 11
	v_sub_u32_e32 v16, 0x3f1, v12
	v_cndmask_b32_e64 v10, 0, 1, vcc
	v_and_or_b32 v6, v8, s10, v6
	v_sub_u32_e32 v17, 0x3f1, v14
	v_med3_i32 v8, v16, 0, 13
	v_and_or_b32 v10, v13, s10, v10
	v_or_b32_e32 v16, 0x1000, v6
	v_add_u32_e32 v12, 0xfffffc10, v12
	v_med3_i32 v13, v17, 0, 13
	v_cmp_ne_u32_e32 vcc, 0, v6
	v_or_b32_e32 v18, 0x1000, v10
	v_lshrrev_b32_e32 v20, v8, v16
	v_add_u32_e32 v14, 0xfffffc10, v14
	v_lshl_or_b32 v17, v12, 12, v6
	v_cndmask_b32_e64 v6, 0, 1, vcc
	v_cmp_ne_u32_e32 vcc, 0, v10
	v_lshrrev_b32_e32 v21, v13, v18
	v_lshlrev_b32_e32 v8, v8, v20
	v_lshl_or_b32 v19, v14, 12, v10
	v_cndmask_b32_e64 v10, 0, 1, vcc
	v_lshlrev_b32_e32 v13, v13, v21
	v_cmp_ne_u32_e32 vcc, v8, v16
	v_cndmask_b32_e64 v8, 0, 1, vcc
	v_cmp_ne_u32_e32 vcc, v13, v18
	v_cndmask_b32_e64 v13, 0, 1, vcc
	v_or_b32_e32 v8, v20, v8
	v_cmp_gt_i32_e32 vcc, 1, v12
	v_cndmask_b32_e32 v8, v17, v8, vcc
	v_or_b32_e32 v13, v21, v13
	v_cmp_gt_i32_e32 vcc, 1, v14
	v_and_b32_e32 v16, 7, v8
	v_cndmask_b32_e32 v13, v19, v13, vcc
	v_cmp_lt_i32_e32 vcc, 5, v16
	v_cmp_eq_u32_e64 s[0:1], 3, v16
	v_lshrrev_b32_e32 v8, 2, v8
	v_and_b32_e32 v17, 7, v13
	s_or_b64 vcc, s[0:1], vcc
	v_cmp_lt_i32_e64 s[2:3], 5, v17
	v_cmp_eq_u32_e64 s[4:5], 3, v17
	v_addc_co_u32_e32 v8, vcc, 0, v8, vcc
	v_lshrrev_b32_e32 v13, 2, v13
	s_or_b64 vcc, s[4:5], s[2:3]
	v_addc_co_u32_e32 v13, vcc, 0, v13, vcc
	v_cmp_gt_i32_e32 vcc, 31, v12
	v_cndmask_b32_e32 v8, v2, v8, vcc
	v_cmp_gt_i32_e32 vcc, 31, v14
	v_lshl_or_b32 v6, v6, 9, v2
	v_cndmask_b32_e32 v13, v2, v13, vcc
	v_cmp_eq_u32_e32 vcc, s18, v12
	v_lshrrev_b32_e32 v9, 16, v9
	v_lshl_or_b32 v10, v10, 9, v2
	v_cndmask_b32_e32 v6, v8, v6, vcc
	v_cmp_eq_u32_e32 vcc, s18, v14
	v_lshrrev_b32_e32 v11, 16, v11
	v_cndmask_b32_e32 v8, v13, v10, vcc
	v_and_or_b32 v6, v9, s17, v6
	v_and_or_b32 v8, v11, s17, v8
	v_and_b32_e32 v6, 0xffff, v6
	v_lshl_or_b32 v6, v8, 16, v6
	global_store_dword v[4:5], v6, off
	global_load_dword v10, v30, s[6:7] offset:2304
	v_or_b32_e32 v11, 0x240, v0
	v_mad_u64_u32 v[8:9], s[0:1], s8, v11, 0
	v_mov_b32_e32 v6, v9
	v_lshrrev_b32_e32 v9, 16, v7
	s_waitcnt vmcnt(0)
	v_mul_f16_sdwa v12, v9, v10 dst_sel:DWORD dst_unused:UNUSED_PAD src0_sel:DWORD src1_sel:WORD_1
	v_fma_f16 v12, v7, v10, v12
	v_mul_f16_sdwa v7, v7, v10 dst_sel:DWORD dst_unused:UNUSED_PAD src0_sel:DWORD src1_sel:WORD_1
	v_cvt_f32_f16_e32 v12, v12
	v_fma_f16 v7, v10, v9, -v7
	v_cvt_f32_f16_e32 v13, v7
	v_mad_u64_u32 v[6:7], s[0:1], s9, v11, v[6:7]
	v_cvt_f64_f32_e32 v[9:10], v12
	v_cvt_f64_f32_e32 v[11:12], v13
	v_mul_f64 v[13:14], v[9:10], s[14:15]
	v_mov_b32_e32 v9, v6
	v_lshlrev_b64 v[6:7], 2, v[8:9]
	v_mul_f64 v[8:9], v[11:12], s[14:15]
	v_add_co_u32_e32 v6, vcc, v1, v6
	v_addc_co_u32_e32 v7, vcc, v3, v7, vcc
	v_and_or_b32 v10, v14, s16, v13
	v_cmp_ne_u32_e32 vcc, 0, v10
	v_lshrrev_b32_e32 v11, 8, v14
	v_and_or_b32 v8, v9, s16, v8
	v_bfe_u32 v12, v14, 20, 11
	v_cndmask_b32_e64 v10, 0, 1, vcc
	v_cmp_ne_u32_e32 vcc, 0, v8
	v_lshrrev_b32_e32 v13, 16, v14
	v_lshrrev_b32_e32 v14, 8, v9
	v_bfe_u32 v16, v9, 20, 11
	v_sub_u32_e32 v17, 0x3f1, v12
	v_cndmask_b32_e64 v8, 0, 1, vcc
	v_and_or_b32 v10, v11, s10, v10
	v_sub_u32_e32 v18, 0x3f1, v16
	v_med3_i32 v11, v17, 0, 13
	v_and_or_b32 v8, v14, s10, v8
	v_or_b32_e32 v17, 0x1000, v10
	v_add_u32_e32 v12, 0xfffffc10, v12
	v_med3_i32 v14, v18, 0, 13
	v_cmp_ne_u32_e32 vcc, 0, v10
	v_or_b32_e32 v19, 0x1000, v8
	v_lshrrev_b32_e32 v21, v11, v17
	v_add_u32_e32 v16, 0xfffffc10, v16
	v_lshl_or_b32 v18, v12, 12, v10
	v_cndmask_b32_e64 v10, 0, 1, vcc
	v_cmp_ne_u32_e32 vcc, 0, v8
	v_lshrrev_b32_e32 v22, v14, v19
	v_lshlrev_b32_e32 v11, v11, v21
	v_lshl_or_b32 v20, v16, 12, v8
	v_cndmask_b32_e64 v8, 0, 1, vcc
	v_lshlrev_b32_e32 v14, v14, v22
	v_cmp_ne_u32_e32 vcc, v11, v17
	v_cndmask_b32_e64 v11, 0, 1, vcc
	v_cmp_ne_u32_e32 vcc, v14, v19
	v_cndmask_b32_e64 v14, 0, 1, vcc
	v_or_b32_e32 v11, v21, v11
	v_cmp_gt_i32_e32 vcc, 1, v12
	v_cndmask_b32_e32 v11, v18, v11, vcc
	v_or_b32_e32 v14, v22, v14
	v_cmp_gt_i32_e32 vcc, 1, v16
	v_and_b32_e32 v17, 7, v11
	v_cndmask_b32_e32 v14, v20, v14, vcc
	v_cmp_lt_i32_e32 vcc, 5, v17
	v_cmp_eq_u32_e64 s[0:1], 3, v17
	v_lshrrev_b32_e32 v11, 2, v11
	v_and_b32_e32 v18, 7, v14
	s_or_b64 vcc, s[0:1], vcc
	v_cmp_lt_i32_e64 s[2:3], 5, v18
	v_cmp_eq_u32_e64 s[4:5], 3, v18
	v_addc_co_u32_e32 v11, vcc, 0, v11, vcc
	v_lshrrev_b32_e32 v14, 2, v14
	s_or_b64 vcc, s[4:5], s[2:3]
	v_addc_co_u32_e32 v14, vcc, 0, v14, vcc
	v_cmp_gt_i32_e32 vcc, 31, v12
	v_cndmask_b32_e32 v11, v2, v11, vcc
	v_cmp_gt_i32_e32 vcc, 31, v16
	v_lshl_or_b32 v10, v10, 9, v2
	v_cndmask_b32_e32 v14, v2, v14, vcc
	v_cmp_eq_u32_e32 vcc, s18, v12
	v_lshl_or_b32 v8, v8, 9, v2
	v_cndmask_b32_e32 v10, v11, v10, vcc
	v_cmp_eq_u32_e32 vcc, s18, v16
	v_lshrrev_b32_e32 v9, 16, v9
	v_cndmask_b32_e32 v8, v14, v8, vcc
	v_and_or_b32 v10, v13, s17, v10
	v_and_or_b32 v8, v9, s17, v8
	v_and_b32_e32 v9, 0xffff, v10
	v_lshl_or_b32 v8, v8, 16, v9
	global_store_dword v[6:7], v8, off
	global_load_dword v8, v30, s[6:7] offset:2496
	ds_read2_b32 v[6:7], v15 offset0:112 offset1:160
	v_add_co_u32_e32 v4, vcc, s13, v4
	s_waitcnt lgkmcnt(0)
	v_lshrrev_b32_e32 v9, 16, v6
	s_waitcnt vmcnt(0)
	v_mul_f16_sdwa v10, v9, v8 dst_sel:DWORD dst_unused:UNUSED_PAD src0_sel:DWORD src1_sel:WORD_1
	v_fma_f16 v10, v6, v8, v10
	v_mul_f16_sdwa v6, v6, v8 dst_sel:DWORD dst_unused:UNUSED_PAD src0_sel:DWORD src1_sel:WORD_1
	v_cvt_f32_f16_e32 v10, v10
	v_fma_f16 v6, v8, v9, -v6
	v_cvt_f32_f16_e32 v6, v6
	v_cvt_f64_f32_e32 v[8:9], v10
	v_cvt_f64_f32_e32 v[10:11], v6
	v_mov_b32_e32 v6, s19
	v_mul_f64 v[8:9], v[8:9], s[14:15]
	v_addc_co_u32_e32 v5, vcc, v5, v6, vcc
	v_mul_f64 v[10:11], v[10:11], s[14:15]
	v_and_or_b32 v6, v9, s16, v8
	v_cmp_ne_u32_e32 vcc, 0, v6
	v_lshrrev_b32_e32 v8, 8, v9
	v_and_or_b32 v10, v11, s16, v10
	v_bfe_u32 v12, v9, 20, 11
	v_cndmask_b32_e64 v6, 0, 1, vcc
	v_cmp_ne_u32_e32 vcc, 0, v10
	v_lshrrev_b32_e32 v13, 8, v11
	v_bfe_u32 v14, v11, 20, 11
	v_sub_u32_e32 v15, 0x3f1, v12
	v_cndmask_b32_e64 v10, 0, 1, vcc
	v_and_or_b32 v6, v8, s10, v6
	v_sub_u32_e32 v16, 0x3f1, v14
	v_med3_i32 v8, v15, 0, 13
	v_and_or_b32 v10, v13, s10, v10
	v_or_b32_e32 v15, 0x1000, v6
	v_add_u32_e32 v12, 0xfffffc10, v12
	v_med3_i32 v13, v16, 0, 13
	v_cmp_ne_u32_e32 vcc, 0, v6
	v_or_b32_e32 v17, 0x1000, v10
	v_lshrrev_b32_e32 v19, v8, v15
	v_add_u32_e32 v14, 0xfffffc10, v14
	v_lshl_or_b32 v16, v12, 12, v6
	v_cndmask_b32_e64 v6, 0, 1, vcc
	v_cmp_ne_u32_e32 vcc, 0, v10
	v_lshrrev_b32_e32 v20, v13, v17
	v_lshlrev_b32_e32 v8, v8, v19
	v_lshl_or_b32 v18, v14, 12, v10
	v_cndmask_b32_e64 v10, 0, 1, vcc
	v_lshlrev_b32_e32 v13, v13, v20
	v_cmp_ne_u32_e32 vcc, v8, v15
	v_cndmask_b32_e64 v8, 0, 1, vcc
	v_cmp_ne_u32_e32 vcc, v13, v17
	v_cndmask_b32_e64 v13, 0, 1, vcc
	v_or_b32_e32 v8, v19, v8
	v_cmp_gt_i32_e32 vcc, 1, v12
	v_cndmask_b32_e32 v8, v16, v8, vcc
	v_or_b32_e32 v13, v20, v13
	v_cmp_gt_i32_e32 vcc, 1, v14
	v_and_b32_e32 v15, 7, v8
	v_cndmask_b32_e32 v13, v18, v13, vcc
	v_cmp_lt_i32_e32 vcc, 5, v15
	v_cmp_eq_u32_e64 s[0:1], 3, v15
	v_lshrrev_b32_e32 v8, 2, v8
	v_and_b32_e32 v16, 7, v13
	s_or_b64 vcc, s[0:1], vcc
	v_cmp_lt_i32_e64 s[2:3], 5, v16
	v_cmp_eq_u32_e64 s[4:5], 3, v16
	v_addc_co_u32_e32 v8, vcc, 0, v8, vcc
	v_lshrrev_b32_e32 v13, 2, v13
	s_or_b64 vcc, s[4:5], s[2:3]
	v_addc_co_u32_e32 v13, vcc, 0, v13, vcc
	v_cmp_gt_i32_e32 vcc, 31, v12
	v_cndmask_b32_e32 v8, v2, v8, vcc
	v_cmp_gt_i32_e32 vcc, 31, v14
	v_lshl_or_b32 v6, v6, 9, v2
	v_cndmask_b32_e32 v13, v2, v13, vcc
	v_cmp_eq_u32_e32 vcc, s18, v12
	v_lshrrev_b32_e32 v9, 16, v9
	v_lshl_or_b32 v10, v10, 9, v2
	v_cndmask_b32_e32 v6, v8, v6, vcc
	v_cmp_eq_u32_e32 vcc, s18, v14
	v_lshrrev_b32_e32 v11, 16, v11
	v_cndmask_b32_e32 v8, v13, v10, vcc
	v_and_or_b32 v6, v9, s17, v6
	v_and_or_b32 v8, v11, s17, v8
	v_and_b32_e32 v6, 0xffff, v6
	v_lshl_or_b32 v6, v8, 16, v6
	global_store_dword v[4:5], v6, off
	global_load_dword v6, v30, s[6:7] offset:2688
	v_lshrrev_b32_e32 v8, 16, v7
	v_mov_b32_e32 v10, s12
	v_add_co_u32_e32 v4, vcc, s11, v4
	v_addc_co_u32_e32 v5, vcc, v5, v10, vcc
	s_waitcnt vmcnt(0)
	v_mul_f16_sdwa v9, v8, v6 dst_sel:DWORD dst_unused:UNUSED_PAD src0_sel:DWORD src1_sel:WORD_1
	v_fma_f16 v9, v7, v6, v9
	v_mul_f16_sdwa v7, v7, v6 dst_sel:DWORD dst_unused:UNUSED_PAD src0_sel:DWORD src1_sel:WORD_1
	v_cvt_f32_f16_e32 v9, v9
	v_fma_f16 v6, v6, v8, -v7
	v_cvt_f32_f16_e32 v8, v6
	v_cvt_f64_f32_e32 v[6:7], v9
	v_cvt_f64_f32_e32 v[8:9], v8
	v_mul_f64 v[6:7], v[6:7], s[14:15]
	v_mul_f64 v[8:9], v[8:9], s[14:15]
	v_and_or_b32 v6, v7, s16, v6
	v_cmp_ne_u32_e32 vcc, 0, v6
	v_and_or_b32 v8, v9, s16, v8
	v_lshrrev_b32_e32 v10, 8, v7
	v_bfe_u32 v11, v7, 20, 11
	v_cndmask_b32_e64 v6, 0, 1, vcc
	v_cmp_ne_u32_e32 vcc, 0, v8
	v_lshrrev_b32_e32 v12, 8, v9
	v_bfe_u32 v13, v9, 20, 11
	v_sub_u32_e32 v14, 0x3f1, v11
	v_cndmask_b32_e64 v8, 0, 1, vcc
	v_and_or_b32 v6, v10, s10, v6
	v_sub_u32_e32 v15, 0x3f1, v13
	v_med3_i32 v10, v14, 0, 13
	v_and_or_b32 v8, v12, s10, v8
	v_or_b32_e32 v14, 0x1000, v6
	v_add_u32_e32 v11, 0xfffffc10, v11
	v_med3_i32 v12, v15, 0, 13
	v_cmp_ne_u32_e32 vcc, 0, v6
	v_or_b32_e32 v16, 0x1000, v8
	v_lshrrev_b32_e32 v18, v10, v14
	v_add_u32_e32 v13, 0xfffffc10, v13
	v_lshl_or_b32 v15, v11, 12, v6
	v_cndmask_b32_e64 v6, 0, 1, vcc
	v_cmp_ne_u32_e32 vcc, 0, v8
	v_lshrrev_b32_e32 v19, v12, v16
	v_lshlrev_b32_e32 v10, v10, v18
	v_lshl_or_b32 v17, v13, 12, v8
	v_cndmask_b32_e64 v8, 0, 1, vcc
	v_lshlrev_b32_e32 v12, v12, v19
	v_cmp_ne_u32_e32 vcc, v10, v14
	v_cndmask_b32_e64 v10, 0, 1, vcc
	v_cmp_ne_u32_e32 vcc, v12, v16
	v_cndmask_b32_e64 v12, 0, 1, vcc
	v_or_b32_e32 v10, v18, v10
	v_cmp_gt_i32_e32 vcc, 1, v11
	v_cndmask_b32_e32 v10, v15, v10, vcc
	v_or_b32_e32 v12, v19, v12
	v_cmp_gt_i32_e32 vcc, 1, v13
	v_and_b32_e32 v14, 7, v10
	v_cndmask_b32_e32 v12, v17, v12, vcc
	v_cmp_lt_i32_e32 vcc, 5, v14
	v_cmp_eq_u32_e64 s[0:1], 3, v14
	v_lshrrev_b32_e32 v10, 2, v10
	v_and_b32_e32 v15, 7, v12
	s_or_b64 vcc, s[0:1], vcc
	v_cmp_lt_i32_e64 s[2:3], 5, v15
	v_cmp_eq_u32_e64 s[4:5], 3, v15
	v_addc_co_u32_e32 v10, vcc, 0, v10, vcc
	v_lshrrev_b32_e32 v12, 2, v12
	s_or_b64 vcc, s[4:5], s[2:3]
	v_addc_co_u32_e32 v12, vcc, 0, v12, vcc
	v_cmp_gt_i32_e32 vcc, 31, v11
	v_cndmask_b32_e32 v10, v2, v10, vcc
	v_cmp_gt_i32_e32 vcc, 31, v13
	v_lshl_or_b32 v6, v6, 9, v2
	v_cndmask_b32_e32 v12, v2, v12, vcc
	v_cmp_eq_u32_e32 vcc, s18, v11
	v_lshrrev_b32_e32 v7, 16, v7
	v_lshl_or_b32 v8, v8, 9, v2
	v_cndmask_b32_e32 v6, v10, v6, vcc
	v_cmp_eq_u32_e32 vcc, s18, v13
	v_lshrrev_b32_e32 v9, 16, v9
	v_cndmask_b32_e32 v8, v12, v8, vcc
	v_and_or_b32 v6, v7, s17, v6
	v_and_or_b32 v7, v9, s17, v8
	v_and_b32_e32 v6, 0xffff, v6
	v_lshl_or_b32 v6, v7, 16, v6
	global_store_dword v[4:5], v6, off
	global_load_dword v8, v30, s[6:7] offset:2880
	v_add_u32_e32 v6, 0xa00, v30
	ds_read2_b32 v[6:7], v6 offset0:80 offset1:128
	v_add_co_u32_e32 v4, vcc, s11, v4
	s_waitcnt lgkmcnt(0)
	v_lshrrev_b32_e32 v9, 16, v6
	s_waitcnt vmcnt(0)
	v_mul_f16_sdwa v10, v9, v8 dst_sel:DWORD dst_unused:UNUSED_PAD src0_sel:DWORD src1_sel:WORD_1
	v_fma_f16 v10, v6, v8, v10
	v_mul_f16_sdwa v6, v6, v8 dst_sel:DWORD dst_unused:UNUSED_PAD src0_sel:DWORD src1_sel:WORD_1
	v_cvt_f32_f16_e32 v10, v10
	v_fma_f16 v6, v8, v9, -v6
	v_cvt_f32_f16_e32 v6, v6
	v_cvt_f64_f32_e32 v[8:9], v10
	v_cvt_f64_f32_e32 v[10:11], v6
	v_mov_b32_e32 v6, s12
	v_mul_f64 v[8:9], v[8:9], s[14:15]
	v_addc_co_u32_e32 v5, vcc, v5, v6, vcc
	v_mul_f64 v[10:11], v[10:11], s[14:15]
	v_and_or_b32 v6, v9, s16, v8
	v_cmp_ne_u32_e32 vcc, 0, v6
	v_lshrrev_b32_e32 v8, 8, v9
	v_and_or_b32 v10, v11, s16, v10
	v_bfe_u32 v12, v9, 20, 11
	v_cndmask_b32_e64 v6, 0, 1, vcc
	v_cmp_ne_u32_e32 vcc, 0, v10
	v_lshrrev_b32_e32 v13, 8, v11
	v_bfe_u32 v14, v11, 20, 11
	v_sub_u32_e32 v15, 0x3f1, v12
	v_cndmask_b32_e64 v10, 0, 1, vcc
	v_and_or_b32 v6, v8, s10, v6
	v_sub_u32_e32 v16, 0x3f1, v14
	v_med3_i32 v8, v15, 0, 13
	v_and_or_b32 v10, v13, s10, v10
	v_or_b32_e32 v15, 0x1000, v6
	v_add_u32_e32 v12, 0xfffffc10, v12
	v_med3_i32 v13, v16, 0, 13
	v_cmp_ne_u32_e32 vcc, 0, v6
	v_or_b32_e32 v17, 0x1000, v10
	v_lshrrev_b32_e32 v19, v8, v15
	v_add_u32_e32 v14, 0xfffffc10, v14
	v_lshl_or_b32 v16, v12, 12, v6
	v_cndmask_b32_e64 v6, 0, 1, vcc
	v_cmp_ne_u32_e32 vcc, 0, v10
	v_lshrrev_b32_e32 v20, v13, v17
	v_lshlrev_b32_e32 v8, v8, v19
	v_lshl_or_b32 v18, v14, 12, v10
	v_cndmask_b32_e64 v10, 0, 1, vcc
	v_lshlrev_b32_e32 v13, v13, v20
	v_cmp_ne_u32_e32 vcc, v8, v15
	v_cndmask_b32_e64 v8, 0, 1, vcc
	v_cmp_ne_u32_e32 vcc, v13, v17
	v_cndmask_b32_e64 v13, 0, 1, vcc
	v_or_b32_e32 v8, v19, v8
	v_cmp_gt_i32_e32 vcc, 1, v12
	v_cndmask_b32_e32 v8, v16, v8, vcc
	v_or_b32_e32 v13, v20, v13
	v_cmp_gt_i32_e32 vcc, 1, v14
	v_and_b32_e32 v15, 7, v8
	v_cndmask_b32_e32 v13, v18, v13, vcc
	v_cmp_lt_i32_e32 vcc, 5, v15
	v_cmp_eq_u32_e64 s[0:1], 3, v15
	v_lshrrev_b32_e32 v8, 2, v8
	v_and_b32_e32 v16, 7, v13
	s_or_b64 vcc, s[0:1], vcc
	v_cmp_lt_i32_e64 s[2:3], 5, v16
	v_cmp_eq_u32_e64 s[4:5], 3, v16
	v_addc_co_u32_e32 v8, vcc, 0, v8, vcc
	v_lshrrev_b32_e32 v13, 2, v13
	s_or_b64 vcc, s[4:5], s[2:3]
	v_addc_co_u32_e32 v13, vcc, 0, v13, vcc
	v_cmp_gt_i32_e32 vcc, 31, v12
	v_cndmask_b32_e32 v8, v2, v8, vcc
	v_cmp_gt_i32_e32 vcc, 31, v14
	v_lshl_or_b32 v6, v6, 9, v2
	v_cndmask_b32_e32 v13, v2, v13, vcc
	v_cmp_eq_u32_e32 vcc, s18, v12
	v_lshrrev_b32_e32 v9, 16, v9
	v_lshl_or_b32 v10, v10, 9, v2
	v_cndmask_b32_e32 v6, v8, v6, vcc
	v_cmp_eq_u32_e32 vcc, s18, v14
	v_lshrrev_b32_e32 v11, 16, v11
	v_cndmask_b32_e32 v8, v13, v10, vcc
	v_and_or_b32 v6, v9, s17, v6
	v_and_or_b32 v8, v11, s17, v8
	v_and_b32_e32 v6, 0xffff, v6
	v_lshl_or_b32 v6, v8, 16, v6
	global_store_dword v[4:5], v6, off
	global_load_dword v6, v30, s[6:7] offset:3072
	v_or_b32_e32 v10, 0x300, v0
	v_lshrrev_b32_e32 v0, 16, v7
	v_mad_u64_u32 v[4:5], s[0:1], s8, v10, 0
	s_waitcnt vmcnt(0)
	v_mul_f16_sdwa v8, v0, v6 dst_sel:DWORD dst_unused:UNUSED_PAD src0_sel:DWORD src1_sel:WORD_1
	v_fma_f16 v8, v7, v6, v8
	v_mul_f16_sdwa v7, v7, v6 dst_sel:DWORD dst_unused:UNUSED_PAD src0_sel:DWORD src1_sel:WORD_1
	v_cvt_f32_f16_e32 v8, v8
	v_fma_f16 v0, v6, v0, -v7
	v_cvt_f32_f16_e32 v9, v0
	v_mov_b32_e32 v0, v5
	v_cvt_f64_f32_e32 v[6:7], v8
	v_mad_u64_u32 v[10:11], s[0:1], s9, v10, v[0:1]
	v_cvt_f64_f32_e32 v[8:9], v9
	v_mul_f64 v[6:7], v[6:7], s[14:15]
	v_mov_b32_e32 v5, v10
	v_lshlrev_b64 v[4:5], 2, v[4:5]
	v_mul_f64 v[8:9], v[8:9], s[14:15]
	v_and_or_b32 v0, v7, s16, v6
	v_cmp_ne_u32_e32 vcc, 0, v0
	v_lshrrev_b32_e32 v6, 8, v7
	v_and_or_b32 v8, v9, s16, v8
	v_bfe_u32 v10, v7, 20, 11
	v_cndmask_b32_e64 v0, 0, 1, vcc
	v_cmp_ne_u32_e32 vcc, 0, v8
	v_lshrrev_b32_e32 v11, 8, v9
	v_bfe_u32 v12, v9, 20, 11
	v_sub_u32_e32 v13, 0x3f1, v10
	v_cndmask_b32_e64 v8, 0, 1, vcc
	v_and_or_b32 v0, v6, s10, v0
	v_sub_u32_e32 v14, 0x3f1, v12
	v_med3_i32 v6, v13, 0, 13
	v_and_or_b32 v8, v11, s10, v8
	v_or_b32_e32 v13, 0x1000, v0
	v_add_u32_e32 v10, 0xfffffc10, v10
	v_med3_i32 v11, v14, 0, 13
	v_cmp_ne_u32_e32 vcc, 0, v0
	v_or_b32_e32 v15, 0x1000, v8
	v_lshrrev_b32_e32 v17, v6, v13
	v_add_u32_e32 v12, 0xfffffc10, v12
	v_lshl_or_b32 v14, v10, 12, v0
	v_cndmask_b32_e64 v0, 0, 1, vcc
	v_cmp_ne_u32_e32 vcc, 0, v8
	v_lshrrev_b32_e32 v18, v11, v15
	v_lshlrev_b32_e32 v6, v6, v17
	v_lshl_or_b32 v16, v12, 12, v8
	v_cndmask_b32_e64 v8, 0, 1, vcc
	v_lshlrev_b32_e32 v11, v11, v18
	v_cmp_ne_u32_e32 vcc, v6, v13
	v_cndmask_b32_e64 v6, 0, 1, vcc
	v_cmp_ne_u32_e32 vcc, v11, v15
	v_cndmask_b32_e64 v11, 0, 1, vcc
	v_or_b32_e32 v6, v17, v6
	v_cmp_gt_i32_e32 vcc, 1, v10
	v_cndmask_b32_e32 v6, v14, v6, vcc
	v_or_b32_e32 v11, v18, v11
	v_cmp_gt_i32_e32 vcc, 1, v12
	v_and_b32_e32 v13, 7, v6
	v_cndmask_b32_e32 v11, v16, v11, vcc
	v_cmp_lt_i32_e32 vcc, 5, v13
	v_cmp_eq_u32_e64 s[0:1], 3, v13
	v_lshrrev_b32_e32 v6, 2, v6
	v_and_b32_e32 v14, 7, v11
	s_or_b64 vcc, s[0:1], vcc
	v_cmp_lt_i32_e64 s[2:3], 5, v14
	v_cmp_eq_u32_e64 s[4:5], 3, v14
	v_addc_co_u32_e32 v6, vcc, 0, v6, vcc
	v_lshrrev_b32_e32 v11, 2, v11
	s_or_b64 vcc, s[4:5], s[2:3]
	v_addc_co_u32_e32 v11, vcc, 0, v11, vcc
	v_cmp_gt_i32_e32 vcc, 31, v10
	v_cndmask_b32_e32 v6, v2, v6, vcc
	v_cmp_gt_i32_e32 vcc, 31, v12
	v_lshl_or_b32 v0, v0, 9, v2
	v_lshl_or_b32 v8, v8, 9, v2
	v_cndmask_b32_e32 v2, v2, v11, vcc
	v_cmp_eq_u32_e32 vcc, s18, v10
	v_lshrrev_b32_e32 v7, 16, v7
	v_cndmask_b32_e32 v0, v6, v0, vcc
	v_cmp_eq_u32_e32 vcc, s18, v12
	v_lshrrev_b32_e32 v9, 16, v9
	v_cndmask_b32_e32 v2, v2, v8, vcc
	v_and_or_b32 v0, v7, s17, v0
	v_and_or_b32 v2, v9, s17, v2
	v_and_b32_e32 v0, 0xffff, v0
	v_lshl_or_b32 v2, v2, 16, v0
	v_add_co_u32_e32 v0, vcc, v1, v4
	v_addc_co_u32_e32 v1, vcc, v3, v5, vcc
	global_store_dword v[0:1], v2, off
.LBB0_23:
	s_endpgm
	.section	.rodata,"a",@progbits
	.p2align	6, 0x0
	.amdhsa_kernel bluestein_single_back_len816_dim1_half_op_CI_CI
		.amdhsa_group_segment_fixed_size 3264
		.amdhsa_private_segment_fixed_size 72
		.amdhsa_kernarg_size 104
		.amdhsa_user_sgpr_count 6
		.amdhsa_user_sgpr_private_segment_buffer 1
		.amdhsa_user_sgpr_dispatch_ptr 0
		.amdhsa_user_sgpr_queue_ptr 0
		.amdhsa_user_sgpr_kernarg_segment_ptr 1
		.amdhsa_user_sgpr_dispatch_id 0
		.amdhsa_user_sgpr_flat_scratch_init 0
		.amdhsa_user_sgpr_private_segment_size 0
		.amdhsa_uses_dynamic_stack 0
		.amdhsa_system_sgpr_private_segment_wavefront_offset 1
		.amdhsa_system_sgpr_workgroup_id_x 1
		.amdhsa_system_sgpr_workgroup_id_y 0
		.amdhsa_system_sgpr_workgroup_id_z 0
		.amdhsa_system_sgpr_workgroup_info 0
		.amdhsa_system_vgpr_workitem_id 0
		.amdhsa_next_free_vgpr 256
		.amdhsa_next_free_sgpr 40
		.amdhsa_reserve_vcc 1
		.amdhsa_reserve_flat_scratch 0
		.amdhsa_float_round_mode_32 0
		.amdhsa_float_round_mode_16_64 0
		.amdhsa_float_denorm_mode_32 3
		.amdhsa_float_denorm_mode_16_64 3
		.amdhsa_dx10_clamp 1
		.amdhsa_ieee_mode 1
		.amdhsa_fp16_overflow 0
		.amdhsa_exception_fp_ieee_invalid_op 0
		.amdhsa_exception_fp_denorm_src 0
		.amdhsa_exception_fp_ieee_div_zero 0
		.amdhsa_exception_fp_ieee_overflow 0
		.amdhsa_exception_fp_ieee_underflow 0
		.amdhsa_exception_fp_ieee_inexact 0
		.amdhsa_exception_int_div_zero 0
	.end_amdhsa_kernel
	.text
.Lfunc_end0:
	.size	bluestein_single_back_len816_dim1_half_op_CI_CI, .Lfunc_end0-bluestein_single_back_len816_dim1_half_op_CI_CI
                                        ; -- End function
	.section	.AMDGPU.csdata,"",@progbits
; Kernel info:
; codeLenInByte = 32808
; NumSgprs: 44
; NumVgprs: 256
; ScratchSize: 72
; MemoryBound: 0
; FloatMode: 240
; IeeeMode: 1
; LDSByteSize: 3264 bytes/workgroup (compile time only)
; SGPRBlocks: 5
; VGPRBlocks: 63
; NumSGPRsForWavesPerEU: 44
; NumVGPRsForWavesPerEU: 256
; Occupancy: 1
; WaveLimiterHint : 1
; COMPUTE_PGM_RSRC2:SCRATCH_EN: 1
; COMPUTE_PGM_RSRC2:USER_SGPR: 6
; COMPUTE_PGM_RSRC2:TRAP_HANDLER: 0
; COMPUTE_PGM_RSRC2:TGID_X_EN: 1
; COMPUTE_PGM_RSRC2:TGID_Y_EN: 0
; COMPUTE_PGM_RSRC2:TGID_Z_EN: 0
; COMPUTE_PGM_RSRC2:TIDIG_COMP_CNT: 0
	.type	__hip_cuid_ce86c4e7222cc434,@object ; @__hip_cuid_ce86c4e7222cc434
	.section	.bss,"aw",@nobits
	.globl	__hip_cuid_ce86c4e7222cc434
__hip_cuid_ce86c4e7222cc434:
	.byte	0                               ; 0x0
	.size	__hip_cuid_ce86c4e7222cc434, 1

	.ident	"AMD clang version 19.0.0git (https://github.com/RadeonOpenCompute/llvm-project roc-6.4.0 25133 c7fe45cf4b819c5991fe208aaa96edf142730f1d)"
	.section	".note.GNU-stack","",@progbits
	.addrsig
	.addrsig_sym __hip_cuid_ce86c4e7222cc434
	.amdgpu_metadata
---
amdhsa.kernels:
  - .args:
      - .actual_access:  read_only
        .address_space:  global
        .offset:         0
        .size:           8
        .value_kind:     global_buffer
      - .actual_access:  read_only
        .address_space:  global
        .offset:         8
        .size:           8
        .value_kind:     global_buffer
      - .actual_access:  read_only
        .address_space:  global
        .offset:         16
        .size:           8
        .value_kind:     global_buffer
      - .actual_access:  read_only
        .address_space:  global
        .offset:         24
        .size:           8
        .value_kind:     global_buffer
      - .actual_access:  read_only
        .address_space:  global
        .offset:         32
        .size:           8
        .value_kind:     global_buffer
      - .offset:         40
        .size:           8
        .value_kind:     by_value
      - .address_space:  global
        .offset:         48
        .size:           8
        .value_kind:     global_buffer
      - .address_space:  global
        .offset:         56
        .size:           8
        .value_kind:     global_buffer
      - .address_space:  global
        .offset:         64
        .size:           8
        .value_kind:     global_buffer
      - .address_space:  global
        .offset:         72
        .size:           8
        .value_kind:     global_buffer
      - .offset:         80
        .size:           4
        .value_kind:     by_value
      - .address_space:  global
        .offset:         88
        .size:           8
        .value_kind:     global_buffer
      - .address_space:  global
        .offset:         96
        .size:           8
        .value_kind:     global_buffer
    .group_segment_fixed_size: 3264
    .kernarg_segment_align: 8
    .kernarg_segment_size: 104
    .language:       OpenCL C
    .language_version:
      - 2
      - 0
    .max_flat_workgroup_size: 51
    .name:           bluestein_single_back_len816_dim1_half_op_CI_CI
    .private_segment_fixed_size: 72
    .sgpr_count:     44
    .sgpr_spill_count: 0
    .symbol:         bluestein_single_back_len816_dim1_half_op_CI_CI.kd
    .uniform_work_group_size: 1
    .uses_dynamic_stack: false
    .vgpr_count:     256
    .vgpr_spill_count: 17
    .wavefront_size: 64
amdhsa.target:   amdgcn-amd-amdhsa--gfx906
amdhsa.version:
  - 1
  - 2
...

	.end_amdgpu_metadata
